;; amdgpu-corpus repo=ROCm/rocBLAS kind=compiled arch=gfx950 opt=O3
	.amdgcn_target "amdgcn-amd-amdhsa--gfx950"
	.amdhsa_code_object_version 6
	.section	.text._ZL20rocblas_hbmvn_kernelILi64ELi16EPK19rocblas_complex_numIfES3_PS1_EvbiiT1_T2_lllS6_lllS5_T3_llli,"axG",@progbits,_ZL20rocblas_hbmvn_kernelILi64ELi16EPK19rocblas_complex_numIfES3_PS1_EvbiiT1_T2_lllS6_lllS5_T3_llli,comdat
	.globl	_ZL20rocblas_hbmvn_kernelILi64ELi16EPK19rocblas_complex_numIfES3_PS1_EvbiiT1_T2_lllS6_lllS5_T3_llli ; -- Begin function _ZL20rocblas_hbmvn_kernelILi64ELi16EPK19rocblas_complex_numIfES3_PS1_EvbiiT1_T2_lllS6_lllS5_T3_llli
	.p2align	8
	.type	_ZL20rocblas_hbmvn_kernelILi64ELi16EPK19rocblas_complex_numIfES3_PS1_EvbiiT1_T2_lllS6_lllS5_T3_llli,@function
_ZL20rocblas_hbmvn_kernelILi64ELi16EPK19rocblas_complex_numIfES3_PS1_EvbiiT1_T2_lllS6_lllS5_T3_llli: ; @_ZL20rocblas_hbmvn_kernelILi64ELi16EPK19rocblas_complex_numIfES3_PS1_EvbiiT1_T2_lllS6_lllS5_T3_llli
; %bb.0:
	s_load_dwordx2 s[4:5], s[0:1], 0x94
	s_waitcnt lgkmcnt(0)
	s_lshr_b32 s6, s4, 16
	s_and_b32 s4, s4, 0xffff
	s_and_b32 s5, s5, 0xffff
	s_mul_i32 s6, s6, s4
	s_mul_i32 s6, s6, s5
	s_cmpk_lg_i32 s6, 0x400
	s_cbranch_scc1 .LBB0_46
; %bb.1:
	s_load_dwordx16 s[8:23], s[0:1], 0x10
	s_load_dwordx8 s[24:31], s[0:1], 0x50
	s_waitcnt lgkmcnt(0)
	s_load_dwordx2 s[44:45], s[8:9], 0x0
	s_load_dwordx2 s[34:35], s[26:27], 0x0
	s_waitcnt lgkmcnt(0)
	v_cmp_eq_f32_e64 s[6:7], s44, 0
	v_cmp_eq_f32_e64 s[8:9], s45, 0
	v_cmp_eq_f32_e64 s[26:27], s34, 1.0
	v_cmp_eq_f32_e64 s[36:37], s35, 0
	s_and_b64 s[6:7], s[6:7], s[8:9]
	s_and_b64 s[8:9], s[26:27], s[36:37]
	;; [unrolled: 1-line block ×3, first 2 shown]
	s_and_b64 vcc, exec, s[6:7]
	s_cbranch_vccnz .LBB0_46
; %bb.2:
	s_load_dwordx4 s[36:39], s[0:1], 0x70
	s_load_dwordx4 s[40:43], s[0:1], 0x0
	s_or_b32 s0, s44, s45
	s_bitset0_b32 s0, 31
	s_cmp_eq_u32 s0, 0
	v_and_b32_e32 v1, 0x3ff, v0
	v_bfe_u32 v0, v0, 10, 10
	s_cselect_b64 s[26:27], -1, 0
	v_mad_u32_u24 v20, v0, s4, v1
	s_and_b64 vcc, exec, s[26:27]
	s_cbranch_vccnz .LBB0_34
; %bb.3:
	v_lshrrev_b32_e32 v21, 6, v20
	s_waitcnt lgkmcnt(0)
	v_cmp_gt_i32_e32 vcc, s41, v21
	v_mov_b32_e32 v13, 0
	v_mov_b32_e32 v12, 0
	s_and_saveexec_b64 s[46:47], vcc
	s_cbranch_execz .LBB0_33
; %bb.4:
	s_mul_i32 s0, s17, s3
	s_mul_hi_u32 s1, s16, s3
	s_add_i32 s1, s1, s0
	s_mul_i32 s0, s16, s3
	s_lshl_b32 s33, s2, 6
	s_lshl_b64 s[4:5], s[0:1], 3
	s_add_u32 s8, s10, s4
	s_addc_u32 s9, s11, s5
	s_lshl_b64 s[12:13], s[12:13], 3
	s_add_u32 s48, s8, s12
	v_and_b32_e32 v10, 63, v20
	s_addc_u32 s49, s9, s13
	v_or_b32_e32 v0, s33, v10
	s_bitcmp1_b32 s40, 0
	s_cselect_b64 s[0:1], -1, 0
	v_ashrrev_i32_e32 v1, 31, v0
	s_and_b64 s[6:7], s[0:1], exec
	v_mul_lo_u32 v4, s14, v1
	v_mul_lo_u32 v5, s15, v0
	v_mad_u64_u32 v[2:3], s[52:53], s14, v0, 0
	s_cselect_b32 s40, s42, 0
	s_xor_b64 s[16:17], s[0:1], -1
	v_add3_u32 v3, v3, v4, v5
	s_cmp_eq_u32 s42, 0
	v_lshl_add_u64 v[2:3], v[2:3], 3, s[48:49]
	v_mad_u64_u32 v[4:5], s[48:49], s22, v21, 0
	s_mul_i32 s25, s25, s3
	s_mul_hi_u32 s43, s24, s3
	s_cselect_b64 s[50:51], -1, 0
	v_mov_b32_e32 v6, v5
	s_add_i32 s25, s43, s25
	s_mul_i32 s24, s24, s3
	s_or_b64 s[50:51], s[16:17], s[50:51]
	v_mad_u64_u32 v[6:7], s[48:49], s23, v21, v[6:7]
	s_lshl_b64 s[24:25], s[24:25], 3
	s_lshl_b64 s[20:21], s[20:21], 3
	v_mov_b32_e32 v5, v6
	s_add_u32 s18, s18, s20
	v_sub_u32_e32 v6, s40, v10
	s_addc_u32 s19, s19, s21
	v_subrev_u32_e32 v22, s33, v6
	v_mad_u64_u32 v[6:7], s[20:21], s14, v21, 0
	v_mov_b32_e32 v8, v7
	v_mad_u64_u32 v[8:9], s[20:21], s15, v21, v[8:9]
	s_add_u32 s18, s18, s24
	v_mov_b32_e32 v7, v8
	s_addc_u32 s19, s19, s25
	v_lshl_add_u64 v[6:7], v[6:7], 3, s[8:9]
	s_add_i32 s8, s42, s33
	v_lshl_add_u64 v[4:5], v[4:5], 3, s[18:19]
	s_lshl_b64 s[18:19], s[22:23], 7
	s_lshl_b64 s[20:21], s[14:15], 7
	v_add_u32_e32 v8, s8, v10
	s_lshl_b64 s[8:9], s[14:15], 3
	s_add_u32 s8, s8, -8
	v_mov_b64_e32 v[10:11], s[4:5]
	v_mad_u64_u32 v[10:11], s[4:5], v21, s8, v[10:11]
	s_addc_u32 s9, s9, -1
	v_mov_b32_e32 v12, v11
	v_mad_u64_u32 v[12:13], s[4:5], v21, s9, v[12:13]
	v_mov_b32_e32 v11, v12
	v_lshl_add_u64 v[10:11], v[0:1], 3, v[10:11]
	v_mov_b32_e32 v15, 0
	v_lshl_add_u64 v[10:11], s[10:11], 0, v[10:11]
	s_add_u32 s10, s20, 0xffffff80
	v_mov_b32_e32 v14, v15
	v_cndmask_b32_e64 v9, 0, 1, s[50:51]
	v_cmp_gt_i32_e64 s[6:7], s41, v0
	v_sub_u32_e32 v8, v8, v21
	s_addc_u32 s11, s21, -1
	v_sub_u32_e32 v1, v0, v21
	s_mov_b64 s[14:15], 0
	v_cmp_ne_u32_e64 s[4:5], 1, v9
	v_mov_b64_e32 v[12:13], v[14:15]
	s_branch .LBB0_8
.LBB0_5:                                ;   in Loop: Header=BB0_8 Depth=1
	s_or_b64 exec, exec, s[8:9]
.LBB0_6:                                ;   in Loop: Header=BB0_8 Depth=1
	s_or_b64 exec, exec, s[24:25]
.LBB0_7:                                ;   in Loop: Header=BB0_8 Depth=1
	s_or_b64 exec, exec, s[22:23]
	v_add_u32_e32 v21, 16, v21
	v_cmp_le_i32_e32 vcc, s41, v21
	v_lshl_add_u64 v[4:5], v[4:5], 0, s[18:19]
	v_lshl_add_u64 v[6:7], v[6:7], 0, s[20:21]
	v_add_u32_e32 v8, -16, v8
	v_lshl_add_u64 v[10:11], v[10:11], 0, s[10:11]
	s_or_b64 s[14:15], vcc, s[14:15]
	v_add_u32_e32 v1, -16, v1
	s_andn2_b64 exec, exec, s[14:15]
	s_cbranch_execz .LBB0_32
.LBB0_8:                                ; =>This Inner Loop Header: Depth=1
	s_and_saveexec_b64 s[22:23], s[6:7]
	s_cbranch_execz .LBB0_7
; %bb.9:                                ;   in Loop: Header=BB0_8 Depth=1
	v_cmp_gt_i32_e32 vcc, v0, v21
	s_nop 1
	v_cndmask_b32_e64 v9, 0, 1, vcc
	v_cmp_lt_i32_e32 vcc, v0, v21
	s_nop 1
	v_cndmask_b32_e64 v14, 0, 1, vcc
	v_cndmask_b32_e64 v9, v14, v9, s[0:1]
	v_and_b32_e32 v9, 1, v9
	v_cmp_eq_u32_e32 vcc, 1, v9
	s_xor_b64 s[8:9], vcc, -1
	s_and_saveexec_b64 s[24:25], s[8:9]
	s_xor_b64 s[24:25], exec, s[24:25]
	s_cbranch_execz .LBB0_29
; %bb.10:                               ;   in Loop: Header=BB0_8 Depth=1
	v_add_u32_e32 v9, s42, v1
	v_cndmask_b32_e64 v14, v1, v9, s[0:1]
	v_cmp_le_i32_e32 vcc, s42, v14
	v_cmp_gt_i32_e64 s[8:9], 1, v14
	s_or_b64 s[8:9], vcc, s[8:9]
	s_and_saveexec_b64 s[48:49], s[8:9]
	s_xor_b64 s[8:9], exec, s[48:49]
	s_cbranch_execz .LBB0_26
; %bb.11:                               ;   in Loop: Header=BB0_8 Depth=1
	v_cmp_ne_u32_e32 vcc, 0, v14
	s_and_saveexec_b64 s[48:49], vcc
	s_xor_b64 s[48:49], exec, s[48:49]
	s_cbranch_execz .LBB0_19
; %bb.12:                               ;   in Loop: Header=BB0_8 Depth=1
	v_cmp_eq_u32_e32 vcc, s42, v14
	s_and_saveexec_b64 s[50:51], vcc
	s_cbranch_execz .LBB0_18
; %bb.13:                               ;   in Loop: Header=BB0_8 Depth=1
	s_mov_b64 s[52:53], -1
	s_and_b64 vcc, exec, s[16:17]
                                        ; implicit-def: $vgpr16_vgpr17
	s_cbranch_vccz .LBB0_15
; %bb.14:                               ;   in Loop: Header=BB0_8 Depth=1
	v_lshl_add_u64 v[16:17], v[10:11], 0, s[12:13]
	global_load_dwordx2 v[18:19], v[4:5], off
	global_load_dwordx2 v[24:25], v[16:17], off
	s_mov_b64 s[52:53], 0
	s_waitcnt vmcnt(0)
	v_pk_mul_f32 v[16:17], v[18:19], v[24:25] op_sel:[1,1] op_sel_hi:[0,1]
	v_pk_fma_f32 v[26:27], v[18:19], v[24:25], v[16:17] neg_lo:[0,0,1] neg_hi:[0,0,1]
	v_pk_fma_f32 v[16:17], v[18:19], v[24:25], v[16:17] op_sel_hi:[1,0,1]
	s_nop 0
	v_mov_b32_e32 v27, v17
	v_pk_add_f32 v[16:17], v[12:13], v[26:27]
.LBB0_15:                               ;   in Loop: Header=BB0_8 Depth=1
	s_andn2_b64 vcc, exec, s[52:53]
	s_cbranch_vccnz .LBB0_17
; %bb.16:                               ;   in Loop: Header=BB0_8 Depth=1
	v_ashrrev_i32_e32 v9, 31, v8
	v_lshl_add_u64 v[16:17], v[8:9], 3, v[6:7]
	v_lshl_add_u64 v[16:17], v[16:17], 0, s[12:13]
	global_load_dword v14, v[16:17], off
	global_load_dwordx2 v[18:19], v[4:5], off
	s_waitcnt vmcnt(0)
	v_pk_fma_f32 v[16:17], v[14:15], v[18:19], v[12:13] op_sel_hi:[0,1,1]
.LBB0_17:                               ;   in Loop: Header=BB0_8 Depth=1
	v_mov_b64_e32 v[12:13], v[16:17]
.LBB0_18:                               ;   in Loop: Header=BB0_8 Depth=1
	s_or_b64 exec, exec, s[50:51]
.LBB0_19:                               ;   in Loop: Header=BB0_8 Depth=1
	s_andn2_saveexec_b64 s[48:49], s[48:49]
	s_cbranch_execz .LBB0_25
; %bb.20:                               ;   in Loop: Header=BB0_8 Depth=1
	v_lshl_add_u64 v[16:17], v[6:7], 0, s[12:13]
	s_and_b64 vcc, exec, s[4:5]
	s_mov_b64 s[50:51], -1
                                        ; implicit-def: $vgpr18_vgpr19
	s_cbranch_vccnz .LBB0_22
; %bb.21:                               ;   in Loop: Header=BB0_8 Depth=1
	global_load_dword v14, v[16:17], off
	global_load_dwordx2 v[18:19], v[4:5], off
	s_mov_b64 s[50:51], 0
	s_waitcnt vmcnt(0)
	v_pk_fma_f32 v[18:19], v[14:15], v[18:19], v[12:13] op_sel_hi:[0,1,1]
.LBB0_22:                               ;   in Loop: Header=BB0_8 Depth=1
	s_andn2_b64 vcc, exec, s[50:51]
	s_cbranch_vccnz .LBB0_24
; %bb.23:                               ;   in Loop: Header=BB0_8 Depth=1
	global_load_dwordx2 v[18:19], v[16:17], off
	global_load_dwordx2 v[24:25], v[4:5], off
	s_waitcnt vmcnt(0)
	v_pk_mul_f32 v[16:17], v[24:25], v[18:19] op_sel:[1,1] op_sel_hi:[0,1]
	v_pk_fma_f32 v[26:27], v[24:25], v[18:19], v[16:17] neg_lo:[0,0,1] neg_hi:[0,0,1]
	v_pk_fma_f32 v[16:17], v[24:25], v[18:19], v[16:17] op_sel_hi:[1,0,1]
	s_nop 0
	v_mov_b32_e32 v27, v17
	v_pk_add_f32 v[18:19], v[12:13], v[26:27]
.LBB0_24:                               ;   in Loop: Header=BB0_8 Depth=1
	s_nop 0
	v_mov_b64_e32 v[12:13], v[18:19]
.LBB0_25:                               ;   in Loop: Header=BB0_8 Depth=1
	s_or_b64 exec, exec, s[48:49]
.LBB0_26:                               ;   in Loop: Header=BB0_8 Depth=1
	s_andn2_saveexec_b64 s[8:9], s[8:9]
	s_cbranch_execz .LBB0_28
; %bb.27:                               ;   in Loop: Header=BB0_8 Depth=1
	v_lshl_add_u64 v[16:17], v[6:7], 0, s[12:13]
	v_lshl_add_u64 v[16:17], v[14:15], 3, v[16:17]
	global_load_dwordx2 v[18:19], v[4:5], off
	global_load_dwordx2 v[24:25], v[16:17], off
	s_waitcnt vmcnt(0)
	v_pk_mul_f32 v[16:17], v[18:19], v[24:25] op_sel:[1,1] op_sel_hi:[0,1]
	v_pk_fma_f32 v[26:27], v[18:19], v[24:25], v[16:17] neg_lo:[0,0,1] neg_hi:[0,0,1]
	v_pk_fma_f32 v[16:17], v[18:19], v[24:25], v[16:17] op_sel_hi:[1,0,1]
	s_nop 0
	v_mov_b32_e32 v27, v17
	v_pk_add_f32 v[12:13], v[12:13], v[26:27]
.LBB0_28:                               ;   in Loop: Header=BB0_8 Depth=1
	s_or_b64 exec, exec, s[8:9]
.LBB0_29:                               ;   in Loop: Header=BB0_8 Depth=1
	s_andn2_saveexec_b64 s[24:25], s[24:25]
	s_cbranch_execz .LBB0_6
; %bb.30:                               ;   in Loop: Header=BB0_8 Depth=1
	v_add_u32_e32 v14, v22, v21
	v_cmp_ge_i32_e32 vcc, s42, v14
	v_cmp_lt_i32_e64 s[8:9], -1, v14
	s_and_b64 s[48:49], vcc, s[8:9]
	s_and_saveexec_b64 s[8:9], s[48:49]
	s_cbranch_execz .LBB0_5
; %bb.31:                               ;   in Loop: Header=BB0_8 Depth=1
	v_lshl_add_u64 v[16:17], v[14:15], 3, v[2:3]
	global_load_dwordx2 v[18:19], v[4:5], off
	global_load_dwordx2 v[24:25], v[16:17], off
	s_waitcnt vmcnt(0)
	v_pk_mul_f32 v[16:17], v[24:25], v[18:19] op_sel:[1,1] op_sel_hi:[1,0]
	s_nop 0
	v_pk_fma_f32 v[26:27], v[24:25], v[18:19], v[16:17]
	v_pk_fma_f32 v[16:17], v[24:25], v[18:19], v[16:17] op_sel_hi:[0,1,1] neg_lo:[0,0,1] neg_hi:[0,0,1]
	v_mov_b32_e32 v27, v17
	v_pk_add_f32 v[12:13], v[12:13], v[26:27]
	s_branch .LBB0_5
.LBB0_32:
	s_or_b64 exec, exec, s[14:15]
.LBB0_33:
	s_or_b64 exec, exec, s[46:47]
	v_lshlrev_b32_e32 v0, 3, v20
	ds_write_b64 v0, v[12:13]
	s_waitcnt lgkmcnt(0)
	s_barrier
.LBB0_34:
	v_cmp_gt_u32_e32 vcc, 64, v20
	s_and_saveexec_b64 s[0:1], vcc
	s_cbranch_execz .LBB0_46
; %bb.35:
	s_waitcnt lgkmcnt(0)
	s_mul_i32 s0, s39, s3
	s_mul_hi_u32 s1, s38, s3
	s_add_i32 s1, s1, s0
	s_mul_i32 s0, s38, s3
	s_lshl_b64 s[0:1], s[0:1], 3
	s_add_u32 s3, s28, s0
	s_addc_u32 s5, s29, s1
	s_lshl_b64 s[0:1], s[30:31], 3
	s_add_u32 s4, s3, s0
	v_lshl_or_b32 v4, s2, 6, v20
	s_addc_u32 s5, s5, s1
	s_mov_b64 s[2:3], -1
	s_and_b64 vcc, exec, s[26:27]
	v_cmp_gt_i32_e64 s[0:1], s41, v4
	s_cbranch_vccz .LBB0_41
; %bb.36:
	s_and_saveexec_b64 s[2:3], s[0:1]
	s_cbranch_execz .LBB0_40
; %bb.37:
	v_ashrrev_i32_e32 v0, 31, v4
	v_cmp_neq_f32_e64 s[0:1], s34, 0
	v_cmp_neq_f32_e64 s[6:7], s35, 0
	v_mul_lo_u32 v1, s37, v4
	v_mul_lo_u32 v0, s36, v0
	v_mad_u64_u32 v[2:3], s[8:9], s36, v4, 0
	v_add3_u32 v3, v3, v0, v1
	s_or_b64 s[0:1], s[0:1], s[6:7]
	v_mov_b32_e32 v0, 0
	s_andn2_b64 vcc, exec, s[0:1]
	v_lshl_add_u64 v[2:3], v[2:3], 3, s[4:5]
	v_mov_b32_e32 v1, 0
	s_cbranch_vccnz .LBB0_39
; %bb.38:
	global_load_dwordx2 v[6:7], v[2:3], off
	s_waitcnt vmcnt(0)
	v_pk_mul_f32 v[8:9], s[34:35], v[6:7] op_sel:[1,1] op_sel_hi:[0,1]
	v_pk_fma_f32 v[0:1], s[34:35], v[6:7], v[8:9] neg_lo:[0,0,1] neg_hi:[0,0,1]
	v_pk_fma_f32 v[6:7], s[34:35], v[6:7], v[8:9] op_sel_hi:[1,0,1]
	s_nop 0
	v_mov_b32_e32 v1, v7
.LBB0_39:
	global_store_dwordx2 v[2:3], v[0:1], off
.LBB0_40:
	s_or_b64 exec, exec, s[2:3]
	s_mov_b64 s[2:3], 0
.LBB0_41:
	s_andn2_b64 vcc, exec, s[2:3]
	s_cbranch_vccnz .LBB0_46
; %bb.42:
	v_lshlrev_b32_e32 v5, 3, v20
	ds_read2st64_b64 v[0:3], v5 offset1:1
	ds_read2st64_b64 v[6:9], v5 offset0:2 offset1:3
	ds_read2st64_b64 v[10:13], v5 offset0:4 offset1:5
	;; [unrolled: 1-line block ×4, first 2 shown]
	s_waitcnt lgkmcnt(4)
	v_pk_add_f32 v[0:1], v[0:1], v[2:3]
	v_cmp_gt_i32_e32 vcc, s41, v4
	s_waitcnt lgkmcnt(3)
	v_pk_add_f32 v[0:1], v[0:1], v[6:7]
	s_nop 0
	v_pk_add_f32 v[0:1], v[0:1], v[8:9]
	s_waitcnt lgkmcnt(2)
	v_pk_add_f32 v[0:1], v[0:1], v[10:11]
	s_nop 0
	v_pk_add_f32 v[0:1], v[0:1], v[12:13]
	;; [unrolled: 4-line block ×3, first 2 shown]
	ds_read2st64_b64 v[0:3], v5 offset0:10 offset1:11
	s_waitcnt lgkmcnt(1)
	v_pk_add_f32 v[10:11], v[6:7], v[18:19]
	ds_read2st64_b64 v[6:9], v5 offset0:12 offset1:13
	v_pk_add_f32 v[14:15], v[10:11], v[20:21]
	ds_read2st64_b64 v[10:13], v5 offset0:14 offset1:15
	s_waitcnt lgkmcnt(2)
	v_pk_add_f32 v[0:1], v[14:15], v[0:1]
	s_nop 0
	v_pk_add_f32 v[0:1], v[0:1], v[2:3]
	s_waitcnt lgkmcnt(1)
	v_pk_add_f32 v[0:1], v[0:1], v[6:7]
	s_nop 0
	v_pk_add_f32 v[0:1], v[0:1], v[8:9]
	;; [unrolled: 4-line block ×3, first 2 shown]
	ds_write_b64 v5, v[2:3]
	s_and_b64 exec, exec, vcc
	s_cbranch_execz .LBB0_46
; %bb.43:
	v_pk_mul_f32 v[6:7], v[2:3], s[44:45] op_sel:[1,1] op_sel_hi:[1,0]
	v_cmp_neq_f32_e64 s[0:1], s34, 0
	v_pk_fma_f32 v[0:1], v[2:3], s[44:45], v[6:7] op_sel_hi:[0,1,1] neg_lo:[0,0,1] neg_hi:[0,0,1]
	v_pk_fma_f32 v[2:3], v[2:3], s[44:45], v[6:7] op_sel_hi:[0,1,1]
	v_ashrrev_i32_e32 v1, 31, v4
	v_cmp_neq_f32_e64 s[2:3], s35, 0
	v_mul_lo_u32 v2, s37, v4
	v_mul_lo_u32 v1, s36, v1
	v_mad_u64_u32 v[4:5], s[6:7], s36, v4, 0
	v_add3_u32 v5, v5, v1, v2
	s_or_b64 s[0:1], s[0:1], s[2:3]
	s_andn2_b64 vcc, exec, s[0:1]
	v_lshl_add_u64 v[4:5], v[4:5], 3, s[4:5]
	s_cbranch_vccnz .LBB0_45
; %bb.44:
	global_load_dwordx2 v[6:7], v[4:5], off
	v_mov_b32_e32 v1, v3
	s_waitcnt vmcnt(0)
	v_pk_mul_f32 v[2:3], s[34:35], v[6:7] op_sel:[1,1] op_sel_hi:[0,1]
	v_pk_fma_f32 v[8:9], s[34:35], v[6:7], v[2:3] neg_lo:[0,0,1] neg_hi:[0,0,1]
	v_pk_fma_f32 v[2:3], s[34:35], v[6:7], v[2:3] op_sel_hi:[1,0,1]
	s_nop 0
	v_mov_b32_e32 v9, v3
	v_pk_add_f32 v[0:1], v[0:1], v[8:9]
	s_nop 0
	v_mov_b32_e32 v3, v1
.LBB0_45:
	v_mov_b32_e32 v1, v3
	global_store_dwordx2 v[4:5], v[0:1], off
.LBB0_46:
	s_endpgm
	.section	.rodata,"a",@progbits
	.p2align	6, 0x0
	.amdhsa_kernel _ZL20rocblas_hbmvn_kernelILi64ELi16EPK19rocblas_complex_numIfES3_PS1_EvbiiT1_T2_lllS6_lllS5_T3_llli
		.amdhsa_group_segment_fixed_size 8192
		.amdhsa_private_segment_fixed_size 0
		.amdhsa_kernarg_size 392
		.amdhsa_user_sgpr_count 2
		.amdhsa_user_sgpr_dispatch_ptr 0
		.amdhsa_user_sgpr_queue_ptr 0
		.amdhsa_user_sgpr_kernarg_segment_ptr 1
		.amdhsa_user_sgpr_dispatch_id 0
		.amdhsa_user_sgpr_kernarg_preload_length 0
		.amdhsa_user_sgpr_kernarg_preload_offset 0
		.amdhsa_user_sgpr_private_segment_size 0
		.amdhsa_uses_dynamic_stack 0
		.amdhsa_enable_private_segment 0
		.amdhsa_system_sgpr_workgroup_id_x 1
		.amdhsa_system_sgpr_workgroup_id_y 0
		.amdhsa_system_sgpr_workgroup_id_z 1
		.amdhsa_system_sgpr_workgroup_info 0
		.amdhsa_system_vgpr_workitem_id 1
		.amdhsa_next_free_vgpr 28
		.amdhsa_next_free_sgpr 54
		.amdhsa_accum_offset 28
		.amdhsa_reserve_vcc 1
		.amdhsa_float_round_mode_32 0
		.amdhsa_float_round_mode_16_64 0
		.amdhsa_float_denorm_mode_32 3
		.amdhsa_float_denorm_mode_16_64 3
		.amdhsa_dx10_clamp 1
		.amdhsa_ieee_mode 1
		.amdhsa_fp16_overflow 0
		.amdhsa_tg_split 0
		.amdhsa_exception_fp_ieee_invalid_op 0
		.amdhsa_exception_fp_denorm_src 0
		.amdhsa_exception_fp_ieee_div_zero 0
		.amdhsa_exception_fp_ieee_overflow 0
		.amdhsa_exception_fp_ieee_underflow 0
		.amdhsa_exception_fp_ieee_inexact 0
		.amdhsa_exception_int_div_zero 0
	.end_amdhsa_kernel
	.section	.text._ZL20rocblas_hbmvn_kernelILi64ELi16EPK19rocblas_complex_numIfES3_PS1_EvbiiT1_T2_lllS6_lllS5_T3_llli,"axG",@progbits,_ZL20rocblas_hbmvn_kernelILi64ELi16EPK19rocblas_complex_numIfES3_PS1_EvbiiT1_T2_lllS6_lllS5_T3_llli,comdat
.Lfunc_end0:
	.size	_ZL20rocblas_hbmvn_kernelILi64ELi16EPK19rocblas_complex_numIfES3_PS1_EvbiiT1_T2_lllS6_lllS5_T3_llli, .Lfunc_end0-_ZL20rocblas_hbmvn_kernelILi64ELi16EPK19rocblas_complex_numIfES3_PS1_EvbiiT1_T2_lllS6_lllS5_T3_llli
                                        ; -- End function
	.set _ZL20rocblas_hbmvn_kernelILi64ELi16EPK19rocblas_complex_numIfES3_PS1_EvbiiT1_T2_lllS6_lllS5_T3_llli.num_vgpr, 28
	.set _ZL20rocblas_hbmvn_kernelILi64ELi16EPK19rocblas_complex_numIfES3_PS1_EvbiiT1_T2_lllS6_lllS5_T3_llli.num_agpr, 0
	.set _ZL20rocblas_hbmvn_kernelILi64ELi16EPK19rocblas_complex_numIfES3_PS1_EvbiiT1_T2_lllS6_lllS5_T3_llli.numbered_sgpr, 54
	.set _ZL20rocblas_hbmvn_kernelILi64ELi16EPK19rocblas_complex_numIfES3_PS1_EvbiiT1_T2_lllS6_lllS5_T3_llli.num_named_barrier, 0
	.set _ZL20rocblas_hbmvn_kernelILi64ELi16EPK19rocblas_complex_numIfES3_PS1_EvbiiT1_T2_lllS6_lllS5_T3_llli.private_seg_size, 0
	.set _ZL20rocblas_hbmvn_kernelILi64ELi16EPK19rocblas_complex_numIfES3_PS1_EvbiiT1_T2_lllS6_lllS5_T3_llli.uses_vcc, 1
	.set _ZL20rocblas_hbmvn_kernelILi64ELi16EPK19rocblas_complex_numIfES3_PS1_EvbiiT1_T2_lllS6_lllS5_T3_llli.uses_flat_scratch, 0
	.set _ZL20rocblas_hbmvn_kernelILi64ELi16EPK19rocblas_complex_numIfES3_PS1_EvbiiT1_T2_lllS6_lllS5_T3_llli.has_dyn_sized_stack, 0
	.set _ZL20rocblas_hbmvn_kernelILi64ELi16EPK19rocblas_complex_numIfES3_PS1_EvbiiT1_T2_lllS6_lllS5_T3_llli.has_recursion, 0
	.set _ZL20rocblas_hbmvn_kernelILi64ELi16EPK19rocblas_complex_numIfES3_PS1_EvbiiT1_T2_lllS6_lllS5_T3_llli.has_indirect_call, 0
	.section	.AMDGPU.csdata,"",@progbits
; Kernel info:
; codeLenInByte = 2004
; TotalNumSgprs: 60
; NumVgprs: 28
; NumAgprs: 0
; TotalNumVgprs: 28
; ScratchSize: 0
; MemoryBound: 0
; FloatMode: 240
; IeeeMode: 1
; LDSByteSize: 8192 bytes/workgroup (compile time only)
; SGPRBlocks: 7
; VGPRBlocks: 3
; NumSGPRsForWavesPerEU: 60
; NumVGPRsForWavesPerEU: 28
; AccumOffset: 28
; Occupancy: 8
; WaveLimiterHint : 0
; COMPUTE_PGM_RSRC2:SCRATCH_EN: 0
; COMPUTE_PGM_RSRC2:USER_SGPR: 2
; COMPUTE_PGM_RSRC2:TRAP_HANDLER: 0
; COMPUTE_PGM_RSRC2:TGID_X_EN: 1
; COMPUTE_PGM_RSRC2:TGID_Y_EN: 0
; COMPUTE_PGM_RSRC2:TGID_Z_EN: 1
; COMPUTE_PGM_RSRC2:TIDIG_COMP_CNT: 1
; COMPUTE_PGM_RSRC3_GFX90A:ACCUM_OFFSET: 6
; COMPUTE_PGM_RSRC3_GFX90A:TG_SPLIT: 0
	.section	.text._ZL20rocblas_hbmvn_kernelILi64ELi16E19rocblas_complex_numIfEPKS1_PS1_EvbiiT1_T2_lllS6_lllS5_T3_llli,"axG",@progbits,_ZL20rocblas_hbmvn_kernelILi64ELi16E19rocblas_complex_numIfEPKS1_PS1_EvbiiT1_T2_lllS6_lllS5_T3_llli,comdat
	.globl	_ZL20rocblas_hbmvn_kernelILi64ELi16E19rocblas_complex_numIfEPKS1_PS1_EvbiiT1_T2_lllS6_lllS5_T3_llli ; -- Begin function _ZL20rocblas_hbmvn_kernelILi64ELi16E19rocblas_complex_numIfEPKS1_PS1_EvbiiT1_T2_lllS6_lllS5_T3_llli
	.p2align	8
	.type	_ZL20rocblas_hbmvn_kernelILi64ELi16E19rocblas_complex_numIfEPKS1_PS1_EvbiiT1_T2_lllS6_lllS5_T3_llli,@function
_ZL20rocblas_hbmvn_kernelILi64ELi16E19rocblas_complex_numIfEPKS1_PS1_EvbiiT1_T2_lllS6_lllS5_T3_llli: ; @_ZL20rocblas_hbmvn_kernelILi64ELi16E19rocblas_complex_numIfEPKS1_PS1_EvbiiT1_T2_lllS6_lllS5_T3_llli
; %bb.0:
	s_load_dwordx2 s[4:5], s[0:1], 0x94
	s_waitcnt lgkmcnt(0)
	s_lshr_b32 s6, s4, 16
	s_and_b32 s4, s4, 0xffff
	s_and_b32 s5, s5, 0xffff
	s_mul_i32 s6, s6, s4
	s_mul_i32 s6, s6, s5
	s_cmpk_lg_i32 s6, 0x400
	s_cbranch_scc1 .LBB1_46
; %bb.1:
	s_load_dwordx4 s[28:31], s[0:1], 0x0
	s_load_dword s37, s[0:1], 0x10
	s_load_dwordx2 s[34:35], s[0:1], 0x58
	s_waitcnt lgkmcnt(0)
	v_cmp_eq_f32_e64 s[6:7], s31, 0
	v_cmp_eq_f32_e64 s[8:9], s37, 0
	v_cmp_eq_f32_e64 s[10:11], s34, 1.0
	s_and_b64 s[6:7], s[6:7], s[8:9]
	v_cmp_eq_f32_e64 s[8:9], s35, 0
	s_and_b64 s[8:9], s[10:11], s[8:9]
	s_and_b64 s[6:7], s[6:7], s[8:9]
	s_and_b64 vcc, exec, s[6:7]
	s_cbranch_vccnz .LBB1_46
; %bb.2:
	v_and_b32_e32 v1, 0x3ff, v0
	v_bfe_u32 v0, v0, 10, 10
	v_mad_u32_u24 v20, v0, s4, v1
	s_or_b32 s4, s31, s37
	s_bitset0_b32 s4, 31
	s_cmp_eq_u32 s4, 0
	s_cselect_b64 s[38:39], -1, 0
	s_mov_b32 s36, s31
	s_and_b64 vcc, exec, s[38:39]
	s_cbranch_vccnz .LBB1_34
; %bb.3:
	v_lshrrev_b32_e32 v21, 6, v20
	v_cmp_gt_i32_e32 vcc, s29, v21
	v_mov_b32_e32 v13, 0
	v_mov_b32_e32 v12, 0
	s_and_saveexec_b64 s[40:41], vcc
	s_cbranch_execz .LBB1_33
; %bb.4:
	s_load_dwordx16 s[12:27], s[0:1], 0x18
	s_lshl_b32 s31, s2, 6
	v_and_b32_e32 v10, 63, v20
	v_or_b32_e32 v0, s31, v10
	v_ashrrev_i32_e32 v1, 31, v0
	s_waitcnt lgkmcnt(0)
	s_mul_i32 s4, s19, s3
	s_mul_hi_u32 s5, s18, s3
	s_add_i32 s5, s5, s4
	s_mul_i32 s4, s18, s3
	s_lshl_b64 s[6:7], s[4:5], 3
	s_add_u32 s10, s12, s6
	s_addc_u32 s11, s13, s7
	s_lshl_b64 s[14:15], s[14:15], 3
	s_add_u32 s42, s10, s14
	s_addc_u32 s43, s11, s15
	s_bitcmp1_b32 s28, 0
	s_cselect_b64 s[8:9], -1, 0
	s_and_b64 s[4:5], s[8:9], exec
	v_mul_lo_u32 v4, s16, v1
	v_mul_lo_u32 v5, s17, v0
	v_mad_u64_u32 v[2:3], s[46:47], s16, v0, 0
	s_cselect_b32 s28, s30, 0
	s_xor_b64 s[18:19], s[8:9], -1
	v_add3_u32 v3, v3, v4, v5
	s_cmp_eq_u32 s30, 0
	v_lshl_add_u64 v[2:3], v[2:3], 3, s[42:43]
	v_mad_u64_u32 v[4:5], s[42:43], s24, v21, 0
	s_mul_i32 s27, s27, s3
	s_mul_hi_u32 s33, s26, s3
	s_cselect_b64 s[44:45], -1, 0
	v_mov_b32_e32 v6, v5
	s_add_i32 s27, s33, s27
	s_mul_i32 s26, s26, s3
	s_or_b64 s[44:45], s[18:19], s[44:45]
	v_mad_u64_u32 v[6:7], s[42:43], s25, v21, v[6:7]
	s_lshl_b64 s[26:27], s[26:27], 3
	s_lshl_b64 s[22:23], s[22:23], 3
	v_mov_b32_e32 v5, v6
	s_add_u32 s20, s20, s22
	v_sub_u32_e32 v6, s28, v10
	s_addc_u32 s21, s21, s23
	v_subrev_u32_e32 v22, s31, v6
	v_mad_u64_u32 v[6:7], s[22:23], s16, v21, 0
	v_mov_b32_e32 v8, v7
	v_mad_u64_u32 v[8:9], s[22:23], s17, v21, v[8:9]
	s_add_u32 s20, s20, s26
	v_mov_b32_e32 v7, v8
	s_addc_u32 s21, s21, s27
	v_lshl_add_u64 v[6:7], v[6:7], 3, s[10:11]
	s_add_i32 s10, s30, s31
	v_lshl_add_u64 v[4:5], v[4:5], 3, s[20:21]
	s_lshl_b64 s[20:21], s[24:25], 7
	s_lshl_b64 s[22:23], s[16:17], 7
	v_add_u32_e32 v8, s10, v10
	s_lshl_b64 s[10:11], s[16:17], 3
	s_add_u32 s10, s10, -8
	v_mov_b64_e32 v[10:11], s[6:7]
	v_mad_u64_u32 v[10:11], s[6:7], v21, s10, v[10:11]
	s_addc_u32 s11, s11, -1
	v_mov_b32_e32 v12, v11
	v_mad_u64_u32 v[12:13], s[6:7], v21, s11, v[12:13]
	v_mov_b32_e32 v11, v12
	v_lshl_add_u64 v[10:11], v[0:1], 3, v[10:11]
	v_mov_b32_e32 v15, 0
	v_lshl_add_u64 v[10:11], s[12:13], 0, v[10:11]
	s_add_u32 s12, s22, 0xffffff80
	v_mov_b32_e32 v14, v15
	v_cndmask_b32_e64 v9, 0, 1, s[44:45]
	v_cmp_gt_i32_e64 s[4:5], s29, v0
	v_sub_u32_e32 v8, v8, v21
	s_addc_u32 s13, s23, -1
	v_sub_u32_e32 v1, v0, v21
	s_mov_b64 s[16:17], 0
	v_cmp_ne_u32_e64 s[6:7], 1, v9
	v_mov_b64_e32 v[12:13], v[14:15]
	s_branch .LBB1_8
.LBB1_5:                                ;   in Loop: Header=BB1_8 Depth=1
	s_or_b64 exec, exec, s[10:11]
.LBB1_6:                                ;   in Loop: Header=BB1_8 Depth=1
	s_or_b64 exec, exec, s[26:27]
.LBB1_7:                                ;   in Loop: Header=BB1_8 Depth=1
	s_or_b64 exec, exec, s[24:25]
	v_add_u32_e32 v21, 16, v21
	v_cmp_le_i32_e32 vcc, s29, v21
	v_lshl_add_u64 v[4:5], v[4:5], 0, s[20:21]
	v_lshl_add_u64 v[6:7], v[6:7], 0, s[22:23]
	v_add_u32_e32 v8, -16, v8
	v_lshl_add_u64 v[10:11], v[10:11], 0, s[12:13]
	s_or_b64 s[16:17], vcc, s[16:17]
	v_add_u32_e32 v1, -16, v1
	s_andn2_b64 exec, exec, s[16:17]
	s_cbranch_execz .LBB1_32
.LBB1_8:                                ; =>This Inner Loop Header: Depth=1
	s_and_saveexec_b64 s[24:25], s[4:5]
	s_cbranch_execz .LBB1_7
; %bb.9:                                ;   in Loop: Header=BB1_8 Depth=1
	v_cmp_gt_i32_e32 vcc, v0, v21
	s_nop 1
	v_cndmask_b32_e64 v9, 0, 1, vcc
	v_cmp_lt_i32_e32 vcc, v0, v21
	s_nop 1
	v_cndmask_b32_e64 v14, 0, 1, vcc
	v_cndmask_b32_e64 v9, v14, v9, s[8:9]
	v_and_b32_e32 v9, 1, v9
	v_cmp_eq_u32_e32 vcc, 1, v9
	s_xor_b64 s[10:11], vcc, -1
	s_and_saveexec_b64 s[26:27], s[10:11]
	s_xor_b64 s[26:27], exec, s[26:27]
	s_cbranch_execz .LBB1_29
; %bb.10:                               ;   in Loop: Header=BB1_8 Depth=1
	v_add_u32_e32 v9, s30, v1
	v_cndmask_b32_e64 v14, v1, v9, s[8:9]
	v_cmp_le_i32_e32 vcc, s30, v14
	v_cmp_gt_i32_e64 s[10:11], 1, v14
	s_or_b64 s[10:11], vcc, s[10:11]
	s_and_saveexec_b64 s[42:43], s[10:11]
	s_xor_b64 s[10:11], exec, s[42:43]
	s_cbranch_execz .LBB1_26
; %bb.11:                               ;   in Loop: Header=BB1_8 Depth=1
	v_cmp_ne_u32_e32 vcc, 0, v14
	s_and_saveexec_b64 s[42:43], vcc
	s_xor_b64 s[42:43], exec, s[42:43]
	s_cbranch_execz .LBB1_19
; %bb.12:                               ;   in Loop: Header=BB1_8 Depth=1
	v_cmp_eq_u32_e32 vcc, s30, v14
	s_and_saveexec_b64 s[44:45], vcc
	s_cbranch_execz .LBB1_18
; %bb.13:                               ;   in Loop: Header=BB1_8 Depth=1
	s_mov_b64 s[46:47], -1
	s_and_b64 vcc, exec, s[18:19]
                                        ; implicit-def: $vgpr16_vgpr17
	s_cbranch_vccz .LBB1_15
; %bb.14:                               ;   in Loop: Header=BB1_8 Depth=1
	v_lshl_add_u64 v[16:17], v[10:11], 0, s[14:15]
	global_load_dwordx2 v[18:19], v[4:5], off
	global_load_dwordx2 v[24:25], v[16:17], off
	s_mov_b64 s[46:47], 0
	s_waitcnt vmcnt(0)
	v_pk_mul_f32 v[16:17], v[18:19], v[24:25] op_sel:[1,1] op_sel_hi:[0,1]
	v_pk_fma_f32 v[26:27], v[18:19], v[24:25], v[16:17] neg_lo:[0,0,1] neg_hi:[0,0,1]
	v_pk_fma_f32 v[16:17], v[18:19], v[24:25], v[16:17] op_sel_hi:[1,0,1]
	s_nop 0
	v_mov_b32_e32 v27, v17
	v_pk_add_f32 v[16:17], v[12:13], v[26:27]
.LBB1_15:                               ;   in Loop: Header=BB1_8 Depth=1
	s_andn2_b64 vcc, exec, s[46:47]
	s_cbranch_vccnz .LBB1_17
; %bb.16:                               ;   in Loop: Header=BB1_8 Depth=1
	v_ashrrev_i32_e32 v9, 31, v8
	v_lshl_add_u64 v[16:17], v[8:9], 3, v[6:7]
	v_lshl_add_u64 v[16:17], v[16:17], 0, s[14:15]
	global_load_dword v14, v[16:17], off
	global_load_dwordx2 v[18:19], v[4:5], off
	s_waitcnt vmcnt(0)
	v_pk_fma_f32 v[16:17], v[14:15], v[18:19], v[12:13] op_sel_hi:[0,1,1]
.LBB1_17:                               ;   in Loop: Header=BB1_8 Depth=1
	v_mov_b64_e32 v[12:13], v[16:17]
.LBB1_18:                               ;   in Loop: Header=BB1_8 Depth=1
	s_or_b64 exec, exec, s[44:45]
.LBB1_19:                               ;   in Loop: Header=BB1_8 Depth=1
	s_andn2_saveexec_b64 s[42:43], s[42:43]
	s_cbranch_execz .LBB1_25
; %bb.20:                               ;   in Loop: Header=BB1_8 Depth=1
	v_lshl_add_u64 v[16:17], v[6:7], 0, s[14:15]
	s_and_b64 vcc, exec, s[6:7]
	s_mov_b64 s[44:45], -1
                                        ; implicit-def: $vgpr18_vgpr19
	s_cbranch_vccnz .LBB1_22
; %bb.21:                               ;   in Loop: Header=BB1_8 Depth=1
	global_load_dword v14, v[16:17], off
	global_load_dwordx2 v[18:19], v[4:5], off
	s_mov_b64 s[44:45], 0
	s_waitcnt vmcnt(0)
	v_pk_fma_f32 v[18:19], v[14:15], v[18:19], v[12:13] op_sel_hi:[0,1,1]
.LBB1_22:                               ;   in Loop: Header=BB1_8 Depth=1
	s_andn2_b64 vcc, exec, s[44:45]
	s_cbranch_vccnz .LBB1_24
; %bb.23:                               ;   in Loop: Header=BB1_8 Depth=1
	global_load_dwordx2 v[18:19], v[16:17], off
	global_load_dwordx2 v[24:25], v[4:5], off
	s_waitcnt vmcnt(0)
	v_pk_mul_f32 v[16:17], v[24:25], v[18:19] op_sel:[1,1] op_sel_hi:[0,1]
	v_pk_fma_f32 v[26:27], v[24:25], v[18:19], v[16:17] neg_lo:[0,0,1] neg_hi:[0,0,1]
	v_pk_fma_f32 v[16:17], v[24:25], v[18:19], v[16:17] op_sel_hi:[1,0,1]
	s_nop 0
	v_mov_b32_e32 v27, v17
	v_pk_add_f32 v[18:19], v[12:13], v[26:27]
.LBB1_24:                               ;   in Loop: Header=BB1_8 Depth=1
	s_nop 0
	v_mov_b64_e32 v[12:13], v[18:19]
.LBB1_25:                               ;   in Loop: Header=BB1_8 Depth=1
	s_or_b64 exec, exec, s[42:43]
.LBB1_26:                               ;   in Loop: Header=BB1_8 Depth=1
	s_andn2_saveexec_b64 s[10:11], s[10:11]
	s_cbranch_execz .LBB1_28
; %bb.27:                               ;   in Loop: Header=BB1_8 Depth=1
	v_lshl_add_u64 v[16:17], v[6:7], 0, s[14:15]
	v_lshl_add_u64 v[16:17], v[14:15], 3, v[16:17]
	global_load_dwordx2 v[18:19], v[4:5], off
	global_load_dwordx2 v[24:25], v[16:17], off
	s_waitcnt vmcnt(0)
	v_pk_mul_f32 v[16:17], v[18:19], v[24:25] op_sel:[1,1] op_sel_hi:[0,1]
	v_pk_fma_f32 v[26:27], v[18:19], v[24:25], v[16:17] neg_lo:[0,0,1] neg_hi:[0,0,1]
	v_pk_fma_f32 v[16:17], v[18:19], v[24:25], v[16:17] op_sel_hi:[1,0,1]
	s_nop 0
	v_mov_b32_e32 v27, v17
	v_pk_add_f32 v[12:13], v[12:13], v[26:27]
.LBB1_28:                               ;   in Loop: Header=BB1_8 Depth=1
	s_or_b64 exec, exec, s[10:11]
.LBB1_29:                               ;   in Loop: Header=BB1_8 Depth=1
	s_andn2_saveexec_b64 s[26:27], s[26:27]
	s_cbranch_execz .LBB1_6
; %bb.30:                               ;   in Loop: Header=BB1_8 Depth=1
	v_add_u32_e32 v14, v22, v21
	v_cmp_ge_i32_e32 vcc, s30, v14
	v_cmp_lt_i32_e64 s[10:11], -1, v14
	s_and_b64 s[42:43], vcc, s[10:11]
	s_and_saveexec_b64 s[10:11], s[42:43]
	s_cbranch_execz .LBB1_5
; %bb.31:                               ;   in Loop: Header=BB1_8 Depth=1
	v_lshl_add_u64 v[16:17], v[14:15], 3, v[2:3]
	global_load_dwordx2 v[18:19], v[4:5], off
	global_load_dwordx2 v[24:25], v[16:17], off
	s_waitcnt vmcnt(0)
	v_pk_mul_f32 v[16:17], v[24:25], v[18:19] op_sel:[1,1] op_sel_hi:[1,0]
	s_nop 0
	v_pk_fma_f32 v[26:27], v[24:25], v[18:19], v[16:17]
	v_pk_fma_f32 v[16:17], v[24:25], v[18:19], v[16:17] op_sel_hi:[0,1,1] neg_lo:[0,0,1] neg_hi:[0,0,1]
	v_mov_b32_e32 v27, v17
	v_pk_add_f32 v[12:13], v[12:13], v[26:27]
	s_branch .LBB1_5
.LBB1_32:
	s_or_b64 exec, exec, s[16:17]
.LBB1_33:
	s_or_b64 exec, exec, s[40:41]
	v_lshlrev_b32_e32 v0, 3, v20
	ds_write_b64 v0, v[12:13]
	s_waitcnt lgkmcnt(0)
	s_barrier
.LBB1_34:
	v_cmp_gt_u32_e32 vcc, 64, v20
	s_and_saveexec_b64 s[4:5], vcc
	s_cbranch_execz .LBB1_46
; %bb.35:
	s_load_dwordx8 s[4:11], s[0:1], 0x60
	v_lshl_or_b32 v4, s2, 6, v20
	s_waitcnt lgkmcnt(0)
	s_mul_i32 s1, s11, s3
	s_mul_hi_u32 s2, s10, s3
	s_mul_i32 s0, s10, s3
	s_add_i32 s1, s2, s1
	s_lshl_b64 s[0:1], s[0:1], 3
	s_add_u32 s2, s4, s0
	s_addc_u32 s3, s5, s1
	s_lshl_b64 s[0:1], s[6:7], 3
	s_add_u32 s2, s2, s0
	s_addc_u32 s3, s3, s1
	s_mov_b64 s[4:5], -1
	s_and_b64 vcc, exec, s[38:39]
	v_cmp_gt_i32_e64 s[0:1], s29, v4
	s_cbranch_vccz .LBB1_41
; %bb.36:
	s_and_saveexec_b64 s[4:5], s[0:1]
	s_cbranch_execz .LBB1_40
; %bb.37:
	v_ashrrev_i32_e32 v0, 31, v4
	v_cmp_neq_f32_e64 s[0:1], s34, 0
	v_cmp_neq_f32_e64 s[6:7], s35, 0
	v_mul_lo_u32 v1, s9, v4
	v_mul_lo_u32 v0, s8, v0
	v_mad_u64_u32 v[2:3], s[10:11], s8, v4, 0
	v_add3_u32 v3, v3, v0, v1
	s_or_b64 s[0:1], s[0:1], s[6:7]
	v_mov_b32_e32 v0, 0
	s_andn2_b64 vcc, exec, s[0:1]
	v_lshl_add_u64 v[2:3], v[2:3], 3, s[2:3]
	v_mov_b32_e32 v1, 0
	s_cbranch_vccnz .LBB1_39
; %bb.38:
	global_load_dwordx2 v[6:7], v[2:3], off
	s_waitcnt vmcnt(0)
	v_pk_mul_f32 v[8:9], s[34:35], v[6:7] op_sel:[1,1] op_sel_hi:[0,1]
	v_pk_fma_f32 v[0:1], s[34:35], v[6:7], v[8:9] neg_lo:[0,0,1] neg_hi:[0,0,1]
	v_pk_fma_f32 v[6:7], s[34:35], v[6:7], v[8:9] op_sel_hi:[1,0,1]
	s_nop 0
	v_mov_b32_e32 v1, v7
.LBB1_39:
	global_store_dwordx2 v[2:3], v[0:1], off
.LBB1_40:
	s_or_b64 exec, exec, s[4:5]
	s_mov_b64 s[4:5], 0
.LBB1_41:
	s_andn2_b64 vcc, exec, s[4:5]
	s_cbranch_vccnz .LBB1_46
; %bb.42:
	v_lshlrev_b32_e32 v5, 3, v20
	ds_read2st64_b64 v[0:3], v5 offset1:1
	ds_read2st64_b64 v[6:9], v5 offset0:2 offset1:3
	ds_read2st64_b64 v[10:13], v5 offset0:4 offset1:5
	ds_read2st64_b64 v[14:17], v5 offset0:6 offset1:7
	ds_read2st64_b64 v[18:21], v5 offset0:8 offset1:9
	s_waitcnt lgkmcnt(4)
	v_pk_add_f32 v[0:1], v[0:1], v[2:3]
	v_cmp_gt_i32_e32 vcc, s29, v4
	s_waitcnt lgkmcnt(3)
	v_pk_add_f32 v[0:1], v[0:1], v[6:7]
	s_nop 0
	v_pk_add_f32 v[0:1], v[0:1], v[8:9]
	s_waitcnt lgkmcnt(2)
	v_pk_add_f32 v[0:1], v[0:1], v[10:11]
	s_nop 0
	v_pk_add_f32 v[0:1], v[0:1], v[12:13]
	;; [unrolled: 4-line block ×3, first 2 shown]
	ds_read2st64_b64 v[0:3], v5 offset0:10 offset1:11
	s_waitcnt lgkmcnt(1)
	v_pk_add_f32 v[10:11], v[6:7], v[18:19]
	ds_read2st64_b64 v[6:9], v5 offset0:12 offset1:13
	v_pk_add_f32 v[14:15], v[10:11], v[20:21]
	ds_read2st64_b64 v[10:13], v5 offset0:14 offset1:15
	s_waitcnt lgkmcnt(2)
	v_pk_add_f32 v[0:1], v[14:15], v[0:1]
	s_nop 0
	v_pk_add_f32 v[0:1], v[0:1], v[2:3]
	s_waitcnt lgkmcnt(1)
	v_pk_add_f32 v[0:1], v[0:1], v[6:7]
	s_nop 0
	v_pk_add_f32 v[0:1], v[0:1], v[8:9]
	;; [unrolled: 4-line block ×3, first 2 shown]
	ds_write_b64 v5, v[2:3]
	s_and_b64 exec, exec, vcc
	s_cbranch_execz .LBB1_46
; %bb.43:
	v_pk_mul_f32 v[6:7], v[2:3], s[36:37] op_sel:[1,1] op_sel_hi:[1,0]
	v_cmp_neq_f32_e64 s[0:1], s34, 0
	v_pk_fma_f32 v[0:1], v[2:3], s[36:37], v[6:7] op_sel_hi:[0,1,1] neg_lo:[0,0,1] neg_hi:[0,0,1]
	v_pk_fma_f32 v[2:3], v[2:3], s[36:37], v[6:7] op_sel_hi:[0,1,1]
	v_ashrrev_i32_e32 v1, 31, v4
	v_cmp_neq_f32_e64 s[4:5], s35, 0
	v_mul_lo_u32 v2, s9, v4
	v_mul_lo_u32 v1, s8, v1
	v_mad_u64_u32 v[4:5], s[6:7], s8, v4, 0
	v_add3_u32 v5, v5, v1, v2
	s_or_b64 s[0:1], s[0:1], s[4:5]
	s_andn2_b64 vcc, exec, s[0:1]
	v_lshl_add_u64 v[4:5], v[4:5], 3, s[2:3]
	s_cbranch_vccnz .LBB1_45
; %bb.44:
	global_load_dwordx2 v[6:7], v[4:5], off
	v_mov_b32_e32 v1, v3
	s_waitcnt vmcnt(0)
	v_pk_mul_f32 v[2:3], s[34:35], v[6:7] op_sel:[1,1] op_sel_hi:[0,1]
	v_pk_fma_f32 v[8:9], s[34:35], v[6:7], v[2:3] neg_lo:[0,0,1] neg_hi:[0,0,1]
	v_pk_fma_f32 v[2:3], s[34:35], v[6:7], v[2:3] op_sel_hi:[1,0,1]
	s_nop 0
	v_mov_b32_e32 v9, v3
	v_pk_add_f32 v[0:1], v[0:1], v[8:9]
	s_nop 0
	v_mov_b32_e32 v3, v1
.LBB1_45:
	v_mov_b32_e32 v1, v3
	global_store_dwordx2 v[4:5], v[0:1], off
.LBB1_46:
	s_endpgm
	.section	.rodata,"a",@progbits
	.p2align	6, 0x0
	.amdhsa_kernel _ZL20rocblas_hbmvn_kernelILi64ELi16E19rocblas_complex_numIfEPKS1_PS1_EvbiiT1_T2_lllS6_lllS5_T3_llli
		.amdhsa_group_segment_fixed_size 8192
		.amdhsa_private_segment_fixed_size 0
		.amdhsa_kernarg_size 392
		.amdhsa_user_sgpr_count 2
		.amdhsa_user_sgpr_dispatch_ptr 0
		.amdhsa_user_sgpr_queue_ptr 0
		.amdhsa_user_sgpr_kernarg_segment_ptr 1
		.amdhsa_user_sgpr_dispatch_id 0
		.amdhsa_user_sgpr_kernarg_preload_length 0
		.amdhsa_user_sgpr_kernarg_preload_offset 0
		.amdhsa_user_sgpr_private_segment_size 0
		.amdhsa_uses_dynamic_stack 0
		.amdhsa_enable_private_segment 0
		.amdhsa_system_sgpr_workgroup_id_x 1
		.amdhsa_system_sgpr_workgroup_id_y 0
		.amdhsa_system_sgpr_workgroup_id_z 1
		.amdhsa_system_sgpr_workgroup_info 0
		.amdhsa_system_vgpr_workitem_id 1
		.amdhsa_next_free_vgpr 28
		.amdhsa_next_free_sgpr 48
		.amdhsa_accum_offset 28
		.amdhsa_reserve_vcc 1
		.amdhsa_float_round_mode_32 0
		.amdhsa_float_round_mode_16_64 0
		.amdhsa_float_denorm_mode_32 3
		.amdhsa_float_denorm_mode_16_64 3
		.amdhsa_dx10_clamp 1
		.amdhsa_ieee_mode 1
		.amdhsa_fp16_overflow 0
		.amdhsa_tg_split 0
		.amdhsa_exception_fp_ieee_invalid_op 0
		.amdhsa_exception_fp_denorm_src 0
		.amdhsa_exception_fp_ieee_div_zero 0
		.amdhsa_exception_fp_ieee_overflow 0
		.amdhsa_exception_fp_ieee_underflow 0
		.amdhsa_exception_fp_ieee_inexact 0
		.amdhsa_exception_int_div_zero 0
	.end_amdhsa_kernel
	.section	.text._ZL20rocblas_hbmvn_kernelILi64ELi16E19rocblas_complex_numIfEPKS1_PS1_EvbiiT1_T2_lllS6_lllS5_T3_llli,"axG",@progbits,_ZL20rocblas_hbmvn_kernelILi64ELi16E19rocblas_complex_numIfEPKS1_PS1_EvbiiT1_T2_lllS6_lllS5_T3_llli,comdat
.Lfunc_end1:
	.size	_ZL20rocblas_hbmvn_kernelILi64ELi16E19rocblas_complex_numIfEPKS1_PS1_EvbiiT1_T2_lllS6_lllS5_T3_llli, .Lfunc_end1-_ZL20rocblas_hbmvn_kernelILi64ELi16E19rocblas_complex_numIfEPKS1_PS1_EvbiiT1_T2_lllS6_lllS5_T3_llli
                                        ; -- End function
	.set _ZL20rocblas_hbmvn_kernelILi64ELi16E19rocblas_complex_numIfEPKS1_PS1_EvbiiT1_T2_lllS6_lllS5_T3_llli.num_vgpr, 28
	.set _ZL20rocblas_hbmvn_kernelILi64ELi16E19rocblas_complex_numIfEPKS1_PS1_EvbiiT1_T2_lllS6_lllS5_T3_llli.num_agpr, 0
	.set _ZL20rocblas_hbmvn_kernelILi64ELi16E19rocblas_complex_numIfEPKS1_PS1_EvbiiT1_T2_lllS6_lllS5_T3_llli.numbered_sgpr, 48
	.set _ZL20rocblas_hbmvn_kernelILi64ELi16E19rocblas_complex_numIfEPKS1_PS1_EvbiiT1_T2_lllS6_lllS5_T3_llli.num_named_barrier, 0
	.set _ZL20rocblas_hbmvn_kernelILi64ELi16E19rocblas_complex_numIfEPKS1_PS1_EvbiiT1_T2_lllS6_lllS5_T3_llli.private_seg_size, 0
	.set _ZL20rocblas_hbmvn_kernelILi64ELi16E19rocblas_complex_numIfEPKS1_PS1_EvbiiT1_T2_lllS6_lllS5_T3_llli.uses_vcc, 1
	.set _ZL20rocblas_hbmvn_kernelILi64ELi16E19rocblas_complex_numIfEPKS1_PS1_EvbiiT1_T2_lllS6_lllS5_T3_llli.uses_flat_scratch, 0
	.set _ZL20rocblas_hbmvn_kernelILi64ELi16E19rocblas_complex_numIfEPKS1_PS1_EvbiiT1_T2_lllS6_lllS5_T3_llli.has_dyn_sized_stack, 0
	.set _ZL20rocblas_hbmvn_kernelILi64ELi16E19rocblas_complex_numIfEPKS1_PS1_EvbiiT1_T2_lllS6_lllS5_T3_llli.has_recursion, 0
	.set _ZL20rocblas_hbmvn_kernelILi64ELi16E19rocblas_complex_numIfEPKS1_PS1_EvbiiT1_T2_lllS6_lllS5_T3_llli.has_indirect_call, 0
	.section	.AMDGPU.csdata,"",@progbits
; Kernel info:
; codeLenInByte = 1996
; TotalNumSgprs: 54
; NumVgprs: 28
; NumAgprs: 0
; TotalNumVgprs: 28
; ScratchSize: 0
; MemoryBound: 0
; FloatMode: 240
; IeeeMode: 1
; LDSByteSize: 8192 bytes/workgroup (compile time only)
; SGPRBlocks: 6
; VGPRBlocks: 3
; NumSGPRsForWavesPerEU: 54
; NumVGPRsForWavesPerEU: 28
; AccumOffset: 28
; Occupancy: 8
; WaveLimiterHint : 1
; COMPUTE_PGM_RSRC2:SCRATCH_EN: 0
; COMPUTE_PGM_RSRC2:USER_SGPR: 2
; COMPUTE_PGM_RSRC2:TRAP_HANDLER: 0
; COMPUTE_PGM_RSRC2:TGID_X_EN: 1
; COMPUTE_PGM_RSRC2:TGID_Y_EN: 0
; COMPUTE_PGM_RSRC2:TGID_Z_EN: 1
; COMPUTE_PGM_RSRC2:TIDIG_COMP_CNT: 1
; COMPUTE_PGM_RSRC3_GFX90A:ACCUM_OFFSET: 6
; COMPUTE_PGM_RSRC3_GFX90A:TG_SPLIT: 0
	.section	.text._ZL20rocblas_hbmvn_kernelILi64ELi16EPK19rocblas_complex_numIdES3_PS1_EvbiiT1_T2_lllS6_lllS5_T3_llli,"axG",@progbits,_ZL20rocblas_hbmvn_kernelILi64ELi16EPK19rocblas_complex_numIdES3_PS1_EvbiiT1_T2_lllS6_lllS5_T3_llli,comdat
	.globl	_ZL20rocblas_hbmvn_kernelILi64ELi16EPK19rocblas_complex_numIdES3_PS1_EvbiiT1_T2_lllS6_lllS5_T3_llli ; -- Begin function _ZL20rocblas_hbmvn_kernelILi64ELi16EPK19rocblas_complex_numIdES3_PS1_EvbiiT1_T2_lllS6_lllS5_T3_llli
	.p2align	8
	.type	_ZL20rocblas_hbmvn_kernelILi64ELi16EPK19rocblas_complex_numIdES3_PS1_EvbiiT1_T2_lllS6_lllS5_T3_llli,@function
_ZL20rocblas_hbmvn_kernelILi64ELi16EPK19rocblas_complex_numIdES3_PS1_EvbiiT1_T2_lllS6_lllS5_T3_llli: ; @_ZL20rocblas_hbmvn_kernelILi64ELi16EPK19rocblas_complex_numIdES3_PS1_EvbiiT1_T2_lllS6_lllS5_T3_llli
; %bb.0:
	s_load_dwordx2 s[4:5], s[0:1], 0x94
	s_waitcnt lgkmcnt(0)
	s_lshr_b32 s7, s4, 16
	s_and_b32 s6, s4, 0xffff
	s_and_b32 s5, s5, 0xffff
	s_mul_i32 s4, s7, s6
	s_mul_i32 s4, s4, s5
	s_cmpk_lg_i32 s4, 0x400
	s_cbranch_scc1 .LBB2_51
; %bb.1:
	s_load_dwordx16 s[8:23], s[0:1], 0x10
	s_load_dwordx8 s[24:31], s[0:1], 0x50
	s_waitcnt lgkmcnt(0)
	s_load_dwordx4 s[40:43], s[8:9], 0x0
	s_load_dwordx4 s[36:39], s[26:27], 0x0
	s_waitcnt lgkmcnt(0)
	v_cmp_neq_f64_e64 s[4:5], s[40:41], 0
	v_cmp_neq_f64_e64 s[8:9], s[42:43], 0
	s_or_b64 s[26:27], s[4:5], s[8:9]
	s_mov_b64 s[4:5], -1
	s_and_b64 vcc, exec, s[26:27]
	s_cbranch_vccnz .LBB2_3
; %bb.2:
	v_cmp_neq_f64_e64 s[4:5], s[36:37], 1.0
	v_cmp_neq_f64_e64 s[8:9], s[38:39], 0
	s_or_b64 s[4:5], s[4:5], s[8:9]
.LBB2_3:
	s_andn2_b64 vcc, exec, s[4:5]
	s_cbranch_vccnz .LBB2_51
; %bb.4:
	s_load_dwordx4 s[44:47], s[0:1], 0x70
	s_load_dwordx4 s[48:51], s[0:1], 0x0
	v_and_b32_e32 v1, 0x3ff, v0
	v_bfe_u32 v0, v0, 10, 10
	s_andn2_b64 vcc, exec, s[26:27]
	v_mad_u32_u24 v26, v0, s6, v1
	s_cbranch_vccnz .LBB2_36
; %bb.5:
	v_lshrrev_b32_e32 v27, 6, v26
	s_waitcnt lgkmcnt(0)
	v_cmp_gt_i32_e32 vcc, s49, v27
	v_mov_b64_e32 v[2:3], 0
	v_mov_b64_e32 v[0:1], 0
	s_and_saveexec_b64 s[34:35], vcc
	s_cbranch_execz .LBB2_35
; %bb.6:
	s_mul_i32 s0, s17, s3
	s_mul_hi_u32 s1, s16, s3
	s_add_i32 s1, s1, s0
	s_mul_i32 s0, s16, s3
	s_lshl_b32 s33, s2, 6
	s_lshl_b64 s[4:5], s[0:1], 4
	s_add_u32 s8, s10, s4
	s_addc_u32 s9, s11, s5
	s_lshl_b64 s[12:13], s[12:13], 4
	s_add_u32 s52, s8, s12
	s_addc_u32 s53, s9, s13
	s_bitcmp1_b32 s48, 0
	s_cselect_b64 s[0:1], -1, 0
	v_and_b32_e32 v1, 63, v26
	s_and_b64 s[6:7], s[0:1], exec
	v_or_b32_e32 v4, s33, v1
	s_cselect_b32 s48, s50, 0
	s_xor_b64 s[16:17], s[0:1], -1
	s_cmp_eq_u32 s50, 0
	v_ashrrev_i32_e32 v5, 31, v4
	s_mul_i32 s25, s25, s3
	s_mul_hi_u32 s51, s24, s3
	s_cselect_b64 s[54:55], -1, 0
	v_mul_lo_u32 v6, s14, v5
	v_mul_lo_u32 v7, s15, v4
	v_mad_u64_u32 v[2:3], s[56:57], s14, v4, 0
	s_add_i32 s25, s51, s25
	s_mul_i32 s24, s24, s3
	s_or_b64 s[54:55], s[16:17], s[54:55]
	v_add3_u32 v3, v3, v6, v7
	s_lshl_b64 s[24:25], s[24:25], 4
	s_lshl_b64 s[20:21], s[20:21], 4
	v_lshl_add_u64 v[6:7], v[2:3], 4, s[52:53]
	v_mad_u64_u32 v[2:3], s[52:53], s22, v27, 0
	s_add_u32 s18, s18, s20
	v_mov_b32_e32 v8, v3
	s_addc_u32 s19, s19, s21
	v_mad_u64_u32 v[8:9], s[52:53], s23, v27, v[8:9]
	s_add_u32 s18, s18, s24
	v_mov_b32_e32 v3, v8
	s_addc_u32 s19, s19, s25
	v_lshl_add_u64 v[2:3], v[2:3], 4, s[18:19]
	v_lshl_add_u64 v[8:9], v[2:3], 0, 8
	v_sub_u32_e32 v2, s48, v1
	s_add_i32 s20, s50, s33
	v_subrev_u32_e32 v28, s33, v2
	v_add_u32_e32 v1, s20, v1
	v_mad_u64_u32 v[2:3], s[20:21], s14, v27, 0
	v_mov_b32_e32 v13, 0
	v_mov_b32_e32 v12, v3
	v_mad_u64_u32 v[14:15], s[20:21], s15, v27, v[12:13]
	v_mov_b32_e32 v3, v14
	s_lshl_b64 s[18:19], s[22:23], 8
	v_lshl_add_u64 v[14:15], v[2:3], 4, s[8:9]
	s_lshl_b64 s[20:21], s[14:15], 8
	s_lshl_b64 s[8:9], s[14:15], 4
	s_add_u32 s8, s8, -16
	v_mov_b64_e32 v[2:3], s[4:5]
	v_mad_u64_u32 v[2:3], s[4:5], v27, s8, v[2:3]
	s_addc_u32 s9, s9, -1
	v_mov_b32_e32 v12, v3
	v_mad_u64_u32 v[18:19], s[4:5], v27, s9, v[12:13]
	v_mov_b32_e32 v3, v18
	v_sub_u32_e32 v0, v4, v27
	v_sub_u32_e32 v10, v1, v27
	v_lshl_add_u64 v[2:3], v[4:5], 4, v[2:3]
	v_lshl_add_u64 v[2:3], s[10:11], 0, v[2:3]
	s_add_u32 s10, s20, 0xffffff00
	v_cndmask_b32_e64 v5, v0, v10, s[0:1]
	v_cndmask_b32_e64 v0, 0, 1, s[54:55]
	v_cmp_gt_i32_e64 s[6:7], s49, v4
	v_lshl_add_u64 v[16:17], v[14:15], 0, 8
	v_lshl_add_u64 v[18:19], v[2:3], 0, 8
	s_addc_u32 s11, s21, -1
	v_mov_b64_e32 v[2:3], 0
	s_mov_b64 s[14:15], 0
	v_cmp_ne_u32_e64 s[4:5], 1, v0
	s_mov_b64 s[22:23], 0
	v_mov_b64_e32 v[0:1], 0
	s_branch .LBB2_10
.LBB2_7:                                ;   in Loop: Header=BB2_10 Depth=1
	s_or_b64 exec, exec, s[8:9]
.LBB2_8:                                ;   in Loop: Header=BB2_10 Depth=1
	s_or_b64 exec, exec, s[52:53]
.LBB2_9:                                ;   in Loop: Header=BB2_10 Depth=1
	s_or_b64 exec, exec, s[24:25]
	v_add_u32_e32 v27, 16, v27
	s_add_u32 s22, s22, -16
	s_addc_u32 s23, s23, -1
	v_cmp_le_i32_e32 vcc, s49, v27
	v_lshl_add_u64 v[8:9], v[8:9], 0, s[18:19]
	v_lshl_add_u64 v[16:17], v[16:17], 0, s[20:21]
	;; [unrolled: 1-line block ×3, first 2 shown]
	v_add_u32_e32 v10, -16, v10
	s_or_b64 s[14:15], vcc, s[14:15]
	v_lshl_add_u64 v[18:19], v[18:19], 0, s[10:11]
	s_andn2_b64 exec, exec, s[14:15]
	s_cbranch_execz .LBB2_34
.LBB2_10:                               ; =>This Inner Loop Header: Depth=1
	s_and_saveexec_b64 s[24:25], s[6:7]
	s_cbranch_execz .LBB2_9
; %bb.11:                               ;   in Loop: Header=BB2_10 Depth=1
	v_cmp_gt_i32_e32 vcc, v4, v27
	s_nop 1
	v_cndmask_b32_e64 v11, 0, 1, vcc
	v_cmp_lt_i32_e32 vcc, v4, v27
	s_nop 1
	v_cndmask_b32_e64 v12, 0, 1, vcc
	v_cndmask_b32_e64 v11, v12, v11, s[0:1]
	v_and_b32_e32 v11, 1, v11
	v_cmp_eq_u32_e32 vcc, 1, v11
	s_xor_b64 s[8:9], vcc, -1
	s_and_saveexec_b64 s[52:53], s[8:9]
	s_xor_b64 s[52:53], exec, s[52:53]
	s_cbranch_execz .LBB2_31
; %bb.12:                               ;   in Loop: Header=BB2_10 Depth=1
	v_add_u32_e32 v12, s22, v5
	v_cmp_le_i32_e32 vcc, s50, v12
	v_cmp_gt_i32_e64 s[8:9], 1, v12
	s_or_b64 s[8:9], vcc, s[8:9]
	s_and_saveexec_b64 s[54:55], s[8:9]
	s_xor_b64 s[8:9], exec, s[54:55]
	s_cbranch_execz .LBB2_28
; %bb.13:                               ;   in Loop: Header=BB2_10 Depth=1
	v_cmp_ne_u32_e32 vcc, 0, v12
	s_and_saveexec_b64 s[54:55], vcc
	s_xor_b64 s[54:55], exec, s[54:55]
	s_cbranch_execz .LBB2_21
; %bb.14:                               ;   in Loop: Header=BB2_10 Depth=1
	v_cmp_eq_u32_e32 vcc, s50, v12
	s_and_saveexec_b64 s[56:57], vcc
	s_cbranch_execz .LBB2_20
; %bb.15:                               ;   in Loop: Header=BB2_10 Depth=1
	s_mov_b64 s[58:59], -1
	s_and_b64 vcc, exec, s[16:17]
                                        ; implicit-def: $vgpr20_vgpr21
                                        ; implicit-def: $vgpr22_vgpr23
	s_cbranch_vccz .LBB2_17
; %bb.16:                               ;   in Loop: Header=BB2_10 Depth=1
	v_lshl_add_u64 v[24:25], v[18:19], 0, s[12:13]
	global_load_dwordx4 v[20:23], v[8:9], off offset:-8
	global_load_dwordx4 v[30:33], v[24:25], off offset:-8
	s_mov_b64 s[58:59], 0
	s_waitcnt vmcnt(0)
	v_mul_f64 v[24:25], v[22:23], v[32:33]
	v_mul_f64 v[32:33], v[20:21], v[32:33]
	v_fma_f64 v[20:21], v[20:21], v[30:31], -v[24:25]
	v_fmac_f64_e32 v[32:33], v[22:23], v[30:31]
	v_add_f64 v[22:23], v[0:1], v[20:21]
	v_add_f64 v[20:21], v[2:3], v[32:33]
.LBB2_17:                               ;   in Loop: Header=BB2_10 Depth=1
	s_andn2_b64 vcc, exec, s[58:59]
	s_cbranch_vccnz .LBB2_19
; %bb.18:                               ;   in Loop: Header=BB2_10 Depth=1
	v_ashrrev_i32_e32 v11, 31, v10
	v_lshl_add_u64 v[20:21], v[10:11], 4, v[14:15]
	v_lshl_add_u64 v[24:25], v[20:21], 0, s[12:13]
	global_load_dwordx4 v[20:23], v[8:9], off offset:-8
	s_nop 0
	global_load_dwordx2 v[24:25], v[24:25], off
	s_waitcnt vmcnt(0)
	v_fmac_f64_e32 v[0:1], v[24:25], v[20:21]
	v_fmac_f64_e32 v[2:3], v[24:25], v[22:23]
	v_mov_b64_e32 v[20:21], v[2:3]
	v_mov_b64_e32 v[22:23], v[0:1]
.LBB2_19:                               ;   in Loop: Header=BB2_10 Depth=1
	v_mov_b64_e32 v[2:3], v[20:21]
	v_mov_b64_e32 v[0:1], v[22:23]
.LBB2_20:                               ;   in Loop: Header=BB2_10 Depth=1
	s_or_b64 exec, exec, s[56:57]
.LBB2_21:                               ;   in Loop: Header=BB2_10 Depth=1
	s_andn2_saveexec_b64 s[54:55], s[54:55]
	s_cbranch_execz .LBB2_27
; %bb.22:                               ;   in Loop: Header=BB2_10 Depth=1
	v_lshl_add_u64 v[20:21], v[16:17], 0, s[12:13]
	s_and_b64 vcc, exec, s[4:5]
	s_mov_b64 s[56:57], -1
                                        ; implicit-def: $vgpr24_vgpr25
                                        ; implicit-def: $vgpr22_vgpr23
	s_cbranch_vccnz .LBB2_24
; %bb.23:                               ;   in Loop: Header=BB2_10 Depth=1
	global_load_dwordx2 v[30:31], v[20:21], off offset:-8
	global_load_dwordx4 v[22:25], v[8:9], off offset:-8
	s_mov_b64 s[56:57], 0
	s_waitcnt vmcnt(0)
	v_fma_f64 v[22:23], v[30:31], v[22:23], v[0:1]
	v_fma_f64 v[24:25], v[30:31], v[24:25], v[2:3]
.LBB2_24:                               ;   in Loop: Header=BB2_10 Depth=1
	s_andn2_b64 vcc, exec, s[56:57]
	s_cbranch_vccnz .LBB2_26
; %bb.25:                               ;   in Loop: Header=BB2_10 Depth=1
	global_load_dwordx4 v[22:25], v[8:9], off offset:-8
	global_load_dwordx4 v[30:33], v[20:21], off offset:-8
	s_waitcnt vmcnt(0)
	v_mul_f64 v[20:21], v[24:25], v[32:33]
	v_mul_f64 v[32:33], v[22:23], v[32:33]
	v_fma_f64 v[20:21], v[22:23], v[30:31], -v[20:21]
	v_fmac_f64_e32 v[32:33], v[24:25], v[30:31]
	v_add_f64 v[22:23], v[0:1], v[20:21]
	v_add_f64 v[24:25], v[2:3], v[32:33]
.LBB2_26:                               ;   in Loop: Header=BB2_10 Depth=1
	v_mov_b64_e32 v[2:3], v[24:25]
	v_mov_b64_e32 v[0:1], v[22:23]
.LBB2_27:                               ;   in Loop: Header=BB2_10 Depth=1
	s_or_b64 exec, exec, s[54:55]
.LBB2_28:                               ;   in Loop: Header=BB2_10 Depth=1
	s_andn2_saveexec_b64 s[8:9], s[8:9]
	s_cbranch_execz .LBB2_30
; %bb.29:                               ;   in Loop: Header=BB2_10 Depth=1
	v_lshl_add_u64 v[20:21], v[16:17], 0, s[12:13]
	v_lshl_add_u64 v[24:25], v[12:13], 4, v[20:21]
	global_load_dwordx4 v[20:23], v[8:9], off offset:-8
	global_load_dwordx4 v[30:33], v[24:25], off offset:-8
	s_waitcnt vmcnt(0)
	v_mul_f64 v[24:25], v[22:23], v[32:33]
	v_mul_f64 v[32:33], v[20:21], v[32:33]
	v_fma_f64 v[20:21], v[20:21], v[30:31], -v[24:25]
	v_fmac_f64_e32 v[32:33], v[22:23], v[30:31]
	v_add_f64 v[0:1], v[0:1], v[20:21]
	v_add_f64 v[2:3], v[2:3], v[32:33]
.LBB2_30:                               ;   in Loop: Header=BB2_10 Depth=1
	s_or_b64 exec, exec, s[8:9]
.LBB2_31:                               ;   in Loop: Header=BB2_10 Depth=1
	s_andn2_saveexec_b64 s[52:53], s[52:53]
	s_cbranch_execz .LBB2_8
; %bb.32:                               ;   in Loop: Header=BB2_10 Depth=1
	v_add_u32_e32 v12, v28, v27
	v_cmp_ge_i32_e32 vcc, s50, v12
	v_cmp_lt_i32_e64 s[8:9], -1, v12
	s_and_b64 s[54:55], vcc, s[8:9]
	s_and_saveexec_b64 s[8:9], s[54:55]
	s_cbranch_execz .LBB2_7
; %bb.33:                               ;   in Loop: Header=BB2_10 Depth=1
	v_lshl_add_u64 v[24:25], v[12:13], 4, v[6:7]
	global_load_dwordx4 v[20:23], v[8:9], off offset:-8
	global_load_dwordx4 v[30:33], v[24:25], off
	s_waitcnt vmcnt(0)
	v_mul_f64 v[24:25], v[32:33], v[22:23]
	v_mul_f64 v[32:33], v[32:33], v[20:21]
	v_fmac_f64_e32 v[24:25], v[30:31], v[20:21]
	v_fma_f64 v[20:21], v[30:31], v[22:23], -v[32:33]
	v_add_f64 v[0:1], v[0:1], v[24:25]
	v_add_f64 v[2:3], v[2:3], v[20:21]
	s_branch .LBB2_7
.LBB2_34:
	s_or_b64 exec, exec, s[14:15]
.LBB2_35:
	s_or_b64 exec, exec, s[34:35]
	v_lshlrev_b32_e32 v4, 4, v26
	ds_write_b128 v4, v[0:3]
	s_waitcnt lgkmcnt(0)
	s_barrier
.LBB2_36:
	v_cmp_gt_u32_e32 vcc, 64, v26
	s_and_saveexec_b64 s[0:1], vcc
	s_cbranch_execz .LBB2_51
; %bb.37:
	s_waitcnt lgkmcnt(0)
	s_mul_i32 s4, s47, s3
	s_mul_hi_u32 s5, s46, s3
	s_add_i32 s5, s5, s4
	s_mul_i32 s4, s46, s3
	s_xor_b64 s[0:1], s[26:27], -1
	s_lshl_b64 s[4:5], s[4:5], 4
	s_add_u32 s3, s28, s4
	s_addc_u32 s6, s29, s5
	s_lshl_b64 s[4:5], s[30:31], 4
	s_add_u32 s4, s3, s4
	v_lshl_or_b32 v10, s2, 6, v26
	s_addc_u32 s5, s6, s5
	s_and_b64 vcc, exec, s[0:1]
	v_cmp_gt_i32_e64 s[0:1], s49, v10
	s_cbranch_vccz .LBB2_43
; %bb.38:
	s_mov_b64 s[6:7], 0
	s_mov_b64 s[2:3], 0
                                        ; implicit-def: $vgpr2_vgpr3
                                        ; implicit-def: $vgpr8_vgpr9
	s_and_saveexec_b64 s[8:9], s[0:1]
	s_xor_b64 s[0:1], exec, s[8:9]
	s_cbranch_execz .LBB2_42
; %bb.39:
	v_cmp_neq_f64_e64 s[2:3], s[36:37], 0
	v_cmp_neq_f64_e64 s[8:9], s[38:39], 0
	v_ashrrev_i32_e32 v0, 31, v10
	v_mul_lo_u32 v1, s45, v10
	v_mul_lo_u32 v0, s44, v0
	v_mad_u64_u32 v[8:9], s[10:11], s44, v10, 0
	s_or_b64 s[2:3], s[2:3], s[8:9]
	v_mov_b64_e32 v[2:3], 0
	v_add3_u32 v9, v9, v0, v1
	s_andn2_b64 vcc, exec, s[2:3]
	v_mov_b64_e32 v[0:1], 0
	s_cbranch_vccnz .LBB2_41
; %bb.40:
	v_lshl_add_u64 v[0:1], v[8:9], 4, s[4:5]
	global_load_dwordx4 v[4:7], v[0:1], off
	s_waitcnt vmcnt(0)
	v_mul_f64 v[0:1], s[38:39], v[6:7]
	v_mul_f64 v[2:3], s[36:37], v[6:7]
	v_fma_f64 v[0:1], s[36:37], v[4:5], -v[0:1]
	v_fmac_f64_e32 v[2:3], s[38:39], v[4:5]
.LBB2_41:
	s_mov_b64 s[2:3], exec
.LBB2_42:
	s_or_b64 exec, exec, s[0:1]
	s_and_b64 vcc, exec, s[6:7]
	s_cbranch_vccnz .LBB2_44
	s_branch .LBB2_49
.LBB2_43:
	s_mov_b64 s[2:3], 0
                                        ; implicit-def: $vgpr2_vgpr3
                                        ; implicit-def: $vgpr8_vgpr9
	s_cbranch_execz .LBB2_49
.LBB2_44:
	v_lshlrev_b32_e32 v11, 4, v26
	ds_read_b128 v[0:3], v11
	ds_read_b128 v[4:7], v11 offset:1024
	ds_read_b128 v[12:15], v11 offset:2048
	;; [unrolled: 1-line block ×3, first 2 shown]
	v_cmp_gt_i32_e32 vcc, s49, v10
	s_waitcnt lgkmcnt(2)
	v_add_f64 v[0:1], v[0:1], v[4:5]
	v_add_f64 v[4:5], v[2:3], v[6:7]
	s_waitcnt lgkmcnt(1)
	v_add_f64 v[6:7], v[0:1], v[12:13]
	ds_read_b128 v[0:3], v11 offset:4096
	v_add_f64 v[8:9], v[4:5], v[14:15]
	s_waitcnt lgkmcnt(1)
	v_add_f64 v[12:13], v[6:7], v[16:17]
	ds_read_b128 v[4:7], v11 offset:5120
	;; [unrolled: 4-line block ×9, first 2 shown]
	v_add_f64 v[2:3], v[8:9], v[2:3]
	s_waitcnt lgkmcnt(1)
	v_add_f64 v[4:5], v[0:1], v[4:5]
	v_add_f64 v[8:9], v[2:3], v[6:7]
	ds_read_b128 v[0:3], v11 offset:13312
	s_waitcnt lgkmcnt(1)
	v_add_f64 v[16:17], v[4:5], v[12:13]
	ds_read_b128 v[4:7], v11 offset:14336
	v_add_f64 v[8:9], v[8:9], v[14:15]
	ds_read_b128 v[12:15], v11 offset:15360
	s_waitcnt lgkmcnt(2)
	v_add_f64 v[0:1], v[16:17], v[0:1]
	v_add_f64 v[2:3], v[8:9], v[2:3]
	s_waitcnt lgkmcnt(1)
	v_add_f64 v[0:1], v[0:1], v[4:5]
	v_add_f64 v[2:3], v[2:3], v[6:7]
	;; [unrolled: 3-line block ×3, first 2 shown]
	ds_write_b128 v11, v[4:7]
                                        ; implicit-def: $vgpr2_vgpr3
                                        ; implicit-def: $vgpr8_vgpr9
	s_and_saveexec_b64 s[0:1], vcc
	s_cbranch_execz .LBB2_48
; %bb.45:
	v_mul_f64 v[0:1], s[42:43], v[6:7]
	v_mul_f64 v[2:3], s[40:41], v[6:7]
	v_cmp_neq_f64_e64 s[6:7], s[36:37], 0
	v_cmp_neq_f64_e64 s[8:9], s[38:39], 0
	v_fma_f64 v[0:1], s[40:41], v[4:5], -v[0:1]
	v_fmac_f64_e32 v[2:3], s[42:43], v[4:5]
	v_ashrrev_i32_e32 v4, 31, v10
	v_mul_lo_u32 v5, s45, v10
	v_mul_lo_u32 v4, s44, v4
	v_mad_u64_u32 v[8:9], s[10:11], s44, v10, 0
	s_or_b64 s[6:7], s[6:7], s[8:9]
	s_andn2_b64 vcc, exec, s[6:7]
	v_add3_u32 v9, v9, v4, v5
	s_cbranch_vccnz .LBB2_47
; %bb.46:
	v_lshl_add_u64 v[4:5], v[8:9], 4, s[4:5]
	global_load_dwordx4 v[4:7], v[4:5], off
	s_waitcnt vmcnt(0)
	v_mul_f64 v[10:11], s[38:39], v[6:7]
	v_mul_f64 v[6:7], s[36:37], v[6:7]
	v_fma_f64 v[10:11], s[36:37], v[4:5], -v[10:11]
	v_fmac_f64_e32 v[6:7], s[38:39], v[4:5]
	v_add_f64 v[0:1], v[0:1], v[10:11]
	v_add_f64 v[2:3], v[2:3], v[6:7]
.LBB2_47:
	s_or_b64 s[2:3], s[2:3], exec
.LBB2_48:
	s_or_b64 exec, exec, s[0:1]
.LBB2_49:
	s_and_b64 exec, exec, s[2:3]
	s_cbranch_execz .LBB2_51
; %bb.50:
	v_lshl_add_u64 v[4:5], v[8:9], 4, s[4:5]
	global_store_dwordx4 v[4:5], v[0:3], off
.LBB2_51:
	s_endpgm
	.section	.rodata,"a",@progbits
	.p2align	6, 0x0
	.amdhsa_kernel _ZL20rocblas_hbmvn_kernelILi64ELi16EPK19rocblas_complex_numIdES3_PS1_EvbiiT1_T2_lllS6_lllS5_T3_llli
		.amdhsa_group_segment_fixed_size 16384
		.amdhsa_private_segment_fixed_size 0
		.amdhsa_kernarg_size 392
		.amdhsa_user_sgpr_count 2
		.amdhsa_user_sgpr_dispatch_ptr 0
		.amdhsa_user_sgpr_queue_ptr 0
		.amdhsa_user_sgpr_kernarg_segment_ptr 1
		.amdhsa_user_sgpr_dispatch_id 0
		.amdhsa_user_sgpr_kernarg_preload_length 0
		.amdhsa_user_sgpr_kernarg_preload_offset 0
		.amdhsa_user_sgpr_private_segment_size 0
		.amdhsa_uses_dynamic_stack 0
		.amdhsa_enable_private_segment 0
		.amdhsa_system_sgpr_workgroup_id_x 1
		.amdhsa_system_sgpr_workgroup_id_y 0
		.amdhsa_system_sgpr_workgroup_id_z 1
		.amdhsa_system_sgpr_workgroup_info 0
		.amdhsa_system_vgpr_workitem_id 1
		.amdhsa_next_free_vgpr 34
		.amdhsa_next_free_sgpr 60
		.amdhsa_accum_offset 36
		.amdhsa_reserve_vcc 1
		.amdhsa_float_round_mode_32 0
		.amdhsa_float_round_mode_16_64 0
		.amdhsa_float_denorm_mode_32 3
		.amdhsa_float_denorm_mode_16_64 3
		.amdhsa_dx10_clamp 1
		.amdhsa_ieee_mode 1
		.amdhsa_fp16_overflow 0
		.amdhsa_tg_split 0
		.amdhsa_exception_fp_ieee_invalid_op 0
		.amdhsa_exception_fp_denorm_src 0
		.amdhsa_exception_fp_ieee_div_zero 0
		.amdhsa_exception_fp_ieee_overflow 0
		.amdhsa_exception_fp_ieee_underflow 0
		.amdhsa_exception_fp_ieee_inexact 0
		.amdhsa_exception_int_div_zero 0
	.end_amdhsa_kernel
	.section	.text._ZL20rocblas_hbmvn_kernelILi64ELi16EPK19rocblas_complex_numIdES3_PS1_EvbiiT1_T2_lllS6_lllS5_T3_llli,"axG",@progbits,_ZL20rocblas_hbmvn_kernelILi64ELi16EPK19rocblas_complex_numIdES3_PS1_EvbiiT1_T2_lllS6_lllS5_T3_llli,comdat
.Lfunc_end2:
	.size	_ZL20rocblas_hbmvn_kernelILi64ELi16EPK19rocblas_complex_numIdES3_PS1_EvbiiT1_T2_lllS6_lllS5_T3_llli, .Lfunc_end2-_ZL20rocblas_hbmvn_kernelILi64ELi16EPK19rocblas_complex_numIdES3_PS1_EvbiiT1_T2_lllS6_lllS5_T3_llli
                                        ; -- End function
	.set _ZL20rocblas_hbmvn_kernelILi64ELi16EPK19rocblas_complex_numIdES3_PS1_EvbiiT1_T2_lllS6_lllS5_T3_llli.num_vgpr, 34
	.set _ZL20rocblas_hbmvn_kernelILi64ELi16EPK19rocblas_complex_numIdES3_PS1_EvbiiT1_T2_lllS6_lllS5_T3_llli.num_agpr, 0
	.set _ZL20rocblas_hbmvn_kernelILi64ELi16EPK19rocblas_complex_numIdES3_PS1_EvbiiT1_T2_lllS6_lllS5_T3_llli.numbered_sgpr, 60
	.set _ZL20rocblas_hbmvn_kernelILi64ELi16EPK19rocblas_complex_numIdES3_PS1_EvbiiT1_T2_lllS6_lllS5_T3_llli.num_named_barrier, 0
	.set _ZL20rocblas_hbmvn_kernelILi64ELi16EPK19rocblas_complex_numIdES3_PS1_EvbiiT1_T2_lllS6_lllS5_T3_llli.private_seg_size, 0
	.set _ZL20rocblas_hbmvn_kernelILi64ELi16EPK19rocblas_complex_numIdES3_PS1_EvbiiT1_T2_lllS6_lllS5_T3_llli.uses_vcc, 1
	.set _ZL20rocblas_hbmvn_kernelILi64ELi16EPK19rocblas_complex_numIdES3_PS1_EvbiiT1_T2_lllS6_lllS5_T3_llli.uses_flat_scratch, 0
	.set _ZL20rocblas_hbmvn_kernelILi64ELi16EPK19rocblas_complex_numIdES3_PS1_EvbiiT1_T2_lllS6_lllS5_T3_llli.has_dyn_sized_stack, 0
	.set _ZL20rocblas_hbmvn_kernelILi64ELi16EPK19rocblas_complex_numIdES3_PS1_EvbiiT1_T2_lllS6_lllS5_T3_llli.has_recursion, 0
	.set _ZL20rocblas_hbmvn_kernelILi64ELi16EPK19rocblas_complex_numIdES3_PS1_EvbiiT1_T2_lllS6_lllS5_T3_llli.has_indirect_call, 0
	.section	.AMDGPU.csdata,"",@progbits
; Kernel info:
; codeLenInByte = 2292
; TotalNumSgprs: 66
; NumVgprs: 34
; NumAgprs: 0
; TotalNumVgprs: 34
; ScratchSize: 0
; MemoryBound: 1
; FloatMode: 240
; IeeeMode: 1
; LDSByteSize: 16384 bytes/workgroup (compile time only)
; SGPRBlocks: 8
; VGPRBlocks: 4
; NumSGPRsForWavesPerEU: 66
; NumVGPRsForWavesPerEU: 34
; AccumOffset: 36
; Occupancy: 8
; WaveLimiterHint : 0
; COMPUTE_PGM_RSRC2:SCRATCH_EN: 0
; COMPUTE_PGM_RSRC2:USER_SGPR: 2
; COMPUTE_PGM_RSRC2:TRAP_HANDLER: 0
; COMPUTE_PGM_RSRC2:TGID_X_EN: 1
; COMPUTE_PGM_RSRC2:TGID_Y_EN: 0
; COMPUTE_PGM_RSRC2:TGID_Z_EN: 1
; COMPUTE_PGM_RSRC2:TIDIG_COMP_CNT: 1
; COMPUTE_PGM_RSRC3_GFX90A:ACCUM_OFFSET: 8
; COMPUTE_PGM_RSRC3_GFX90A:TG_SPLIT: 0
	.section	.text._ZL20rocblas_hbmvn_kernelILi64ELi16E19rocblas_complex_numIdEPKS1_PS1_EvbiiT1_T2_lllS6_lllS5_T3_llli,"axG",@progbits,_ZL20rocblas_hbmvn_kernelILi64ELi16E19rocblas_complex_numIdEPKS1_PS1_EvbiiT1_T2_lllS6_lllS5_T3_llli,comdat
	.globl	_ZL20rocblas_hbmvn_kernelILi64ELi16E19rocblas_complex_numIdEPKS1_PS1_EvbiiT1_T2_lllS6_lllS5_T3_llli ; -- Begin function _ZL20rocblas_hbmvn_kernelILi64ELi16E19rocblas_complex_numIdEPKS1_PS1_EvbiiT1_T2_lllS6_lllS5_T3_llli
	.p2align	8
	.type	_ZL20rocblas_hbmvn_kernelILi64ELi16E19rocblas_complex_numIdEPKS1_PS1_EvbiiT1_T2_lllS6_lllS5_T3_llli,@function
_ZL20rocblas_hbmvn_kernelILi64ELi16E19rocblas_complex_numIdEPKS1_PS1_EvbiiT1_T2_lllS6_lllS5_T3_llli: ; @_ZL20rocblas_hbmvn_kernelILi64ELi16E19rocblas_complex_numIdEPKS1_PS1_EvbiiT1_T2_lllS6_lllS5_T3_llli
; %bb.0:
	s_load_dwordx2 s[4:5], s[0:1], 0xa4
	s_waitcnt lgkmcnt(0)
	s_lshr_b32 s7, s4, 16
	s_and_b32 s6, s4, 0xffff
	s_and_b32 s5, s5, 0xffff
	s_mul_i32 s4, s7, s6
	s_mul_i32 s4, s4, s5
	s_cmpk_lg_i32 s4, 0x400
	s_cbranch_scc1 .LBB3_51
; %bb.1:
	s_load_dwordx16 s[36:51], s[0:1], 0x10
	s_load_dwordx16 s[8:23], s[0:1], 0x50
	s_waitcnt lgkmcnt(0)
	v_cmp_neq_f64_e64 s[4:5], s[36:37], 0
	v_cmp_neq_f64_e64 s[24:25], s[38:39], 0
	s_or_b64 s[28:29], s[4:5], s[24:25]
	s_mov_b64 s[4:5], -1
	s_and_b64 vcc, exec, s[28:29]
	s_cbranch_vccnz .LBB3_3
; %bb.2:
	v_cmp_neq_f64_e64 s[4:5], s[12:13], 1.0
	v_cmp_neq_f64_e64 s[24:25], s[14:15], 0
	s_or_b64 s[4:5], s[4:5], s[24:25]
.LBB3_3:
	s_andn2_b64 vcc, exec, s[4:5]
	s_cbranch_vccnz .LBB3_51
; %bb.4:
	s_load_dwordx4 s[24:27], s[0:1], 0x0
	v_and_b32_e32 v1, 0x3ff, v0
	v_bfe_u32 v0, v0, 10, 10
	s_andn2_b64 vcc, exec, s[28:29]
	v_mad_u32_u24 v26, v0, s6, v1
	s_cbranch_vccnz .LBB3_36
; %bb.5:
	v_lshrrev_b32_e32 v27, 6, v26
	s_waitcnt lgkmcnt(0)
	v_cmp_gt_i32_e32 vcc, s25, v27
	v_mov_b64_e32 v[2:3], 0
	v_mov_b64_e32 v[0:1], 0
	s_and_saveexec_b64 s[30:31], vcc
	s_cbranch_execz .LBB3_35
; %bb.6:
	s_mul_i32 s0, s47, s3
	s_mul_hi_u32 s1, s46, s3
	s_add_i32 s1, s1, s0
	s_mul_i32 s0, s46, s3
	s_lshl_b32 s27, s2, 6
	s_lshl_b64 s[6:7], s[0:1], 4
	s_add_u32 s52, s40, s6
	s_addc_u32 s53, s41, s7
	s_lshl_b64 s[34:35], s[42:43], 4
	s_add_u32 s54, s52, s34
	s_addc_u32 s55, s53, s35
	s_bitcmp1_b32 s24, 0
	s_cselect_b64 s[0:1], -1, 0
	v_and_b32_e32 v1, 63, v26
	s_and_b64 s[4:5], s[0:1], exec
	v_or_b32_e32 v4, s27, v1
	s_cselect_b32 s24, s26, 0
	s_xor_b64 s[42:43], s[0:1], -1
	s_cmp_eq_u32 s26, 0
	v_ashrrev_i32_e32 v5, 31, v4
	s_mul_i32 s11, s11, s3
	s_mul_hi_u32 s33, s10, s3
	s_cselect_b64 s[46:47], -1, 0
	v_mul_lo_u32 v6, s44, v5
	v_mul_lo_u32 v7, s45, v4
	v_mad_u64_u32 v[2:3], s[56:57], s44, v4, 0
	s_add_i32 s11, s33, s11
	s_mul_i32 s10, s10, s3
	s_or_b64 s[46:47], s[42:43], s[46:47]
	v_add3_u32 v3, v3, v6, v7
	s_lshl_b64 s[10:11], s[10:11], 4
	s_lshl_b64 s[50:51], s[50:51], 4
	v_lshl_add_u64 v[6:7], v[2:3], 4, s[54:55]
	v_mad_u64_u32 v[2:3], s[54:55], s8, v27, 0
	s_add_u32 s33, s48, s50
	v_mov_b32_e32 v8, v3
	s_addc_u32 s48, s49, s51
	v_mad_u64_u32 v[8:9], s[54:55], s9, v27, v[8:9]
	s_add_u32 s10, s33, s10
	v_mov_b32_e32 v3, v8
	s_addc_u32 s11, s48, s11
	v_lshl_add_u64 v[2:3], v[2:3], 4, s[10:11]
	v_lshl_add_u64 v[8:9], v[2:3], 0, 8
	v_sub_u32_e32 v2, s24, v1
	s_add_i32 s10, s26, s27
	v_subrev_u32_e32 v28, s27, v2
	v_add_u32_e32 v1, s10, v1
	v_mad_u64_u32 v[2:3], s[10:11], s44, v27, 0
	v_mov_b32_e32 v13, 0
	v_mov_b32_e32 v12, v3
	v_mad_u64_u32 v[14:15], s[10:11], s45, v27, v[12:13]
	s_lshl_b64 s[8:9], s[8:9], 8
	v_mov_b32_e32 v3, v14
	s_lshl_b64 s[10:11], s[44:45], 8
	s_lshl_b64 s[44:45], s[44:45], 4
	v_lshl_add_u64 v[14:15], v[2:3], 4, s[52:53]
	s_add_u32 s24, s44, -16
	v_mov_b64_e32 v[2:3], s[6:7]
	v_mad_u64_u32 v[2:3], s[6:7], v27, s24, v[2:3]
	s_addc_u32 s27, s45, -1
	v_mov_b32_e32 v12, v3
	v_mad_u64_u32 v[18:19], s[6:7], v27, s27, v[12:13]
	v_mov_b32_e32 v3, v18
	v_lshl_add_u64 v[2:3], v[4:5], 4, v[2:3]
	v_sub_u32_e32 v0, v4, v27
	v_sub_u32_e32 v10, v1, v27
	v_lshl_add_u64 v[2:3], s[40:41], 0, v[2:3]
	s_add_u32 s40, s10, 0xffffff00
	v_cmp_gt_i32_e64 s[4:5], s25, v4
	v_lshl_add_u64 v[16:17], v[14:15], 0, 8
	v_lshl_add_u64 v[18:19], v[2:3], 0, 8
	s_addc_u32 s41, s11, -1
	v_mov_b64_e32 v[2:3], 0
	s_mov_b64 s[44:45], 0
	v_cndmask_b32_e64 v5, v0, v10, s[0:1]
	s_mov_b64 s[48:49], 0
	v_mov_b64_e32 v[0:1], 0
	s_branch .LBB3_10
.LBB3_7:                                ;   in Loop: Header=BB3_10 Depth=1
	s_or_b64 exec, exec, s[6:7]
.LBB3_8:                                ;   in Loop: Header=BB3_10 Depth=1
	s_or_b64 exec, exec, s[52:53]
.LBB3_9:                                ;   in Loop: Header=BB3_10 Depth=1
	s_or_b64 exec, exec, s[50:51]
	v_add_u32_e32 v27, 16, v27
	s_add_u32 s48, s48, -16
	s_addc_u32 s49, s49, -1
	v_cmp_le_i32_e32 vcc, s25, v27
	v_lshl_add_u64 v[8:9], v[8:9], 0, s[8:9]
	v_lshl_add_u64 v[16:17], v[16:17], 0, s[10:11]
	v_lshl_add_u64 v[14:15], v[14:15], 0, s[10:11]
	v_add_u32_e32 v10, -16, v10
	s_or_b64 s[44:45], vcc, s[44:45]
	v_lshl_add_u64 v[18:19], v[18:19], 0, s[40:41]
	s_andn2_b64 exec, exec, s[44:45]
	s_cbranch_execz .LBB3_34
.LBB3_10:                               ; =>This Inner Loop Header: Depth=1
	s_and_saveexec_b64 s[50:51], s[4:5]
	s_cbranch_execz .LBB3_9
; %bb.11:                               ;   in Loop: Header=BB3_10 Depth=1
	v_cmp_gt_i32_e32 vcc, v4, v27
	s_nop 1
	v_cndmask_b32_e64 v11, 0, 1, vcc
	v_cmp_lt_i32_e32 vcc, v4, v27
	s_nop 1
	v_cndmask_b32_e64 v12, 0, 1, vcc
	v_cndmask_b32_e64 v11, v12, v11, s[0:1]
	v_and_b32_e32 v11, 1, v11
	v_cmp_eq_u32_e32 vcc, 1, v11
	s_xor_b64 s[6:7], vcc, -1
	s_and_saveexec_b64 s[52:53], s[6:7]
	s_xor_b64 s[52:53], exec, s[52:53]
	s_cbranch_execz .LBB3_31
; %bb.12:                               ;   in Loop: Header=BB3_10 Depth=1
	v_add_u32_e32 v12, s48, v5
	v_cmp_le_i32_e32 vcc, s26, v12
	v_cmp_gt_i32_e64 s[6:7], 1, v12
	s_or_b64 s[6:7], vcc, s[6:7]
	s_and_saveexec_b64 s[54:55], s[6:7]
	s_xor_b64 s[6:7], exec, s[54:55]
	s_cbranch_execz .LBB3_28
; %bb.13:                               ;   in Loop: Header=BB3_10 Depth=1
	v_cmp_ne_u32_e32 vcc, 0, v12
	s_and_saveexec_b64 s[54:55], vcc
	s_xor_b64 s[54:55], exec, s[54:55]
	s_cbranch_execz .LBB3_21
; %bb.14:                               ;   in Loop: Header=BB3_10 Depth=1
	v_cmp_eq_u32_e32 vcc, s26, v12
	s_and_saveexec_b64 s[56:57], vcc
	s_cbranch_execz .LBB3_20
; %bb.15:                               ;   in Loop: Header=BB3_10 Depth=1
	s_mov_b64 s[58:59], -1
	s_and_b64 vcc, exec, s[42:43]
                                        ; implicit-def: $vgpr20_vgpr21
                                        ; implicit-def: $vgpr22_vgpr23
	s_cbranch_vccz .LBB3_17
; %bb.16:                               ;   in Loop: Header=BB3_10 Depth=1
	v_lshl_add_u64 v[24:25], v[18:19], 0, s[34:35]
	global_load_dwordx4 v[20:23], v[8:9], off offset:-8
	global_load_dwordx4 v[30:33], v[24:25], off offset:-8
	s_mov_b64 s[58:59], 0
	s_waitcnt vmcnt(0)
	v_mul_f64 v[24:25], v[22:23], v[32:33]
	v_mul_f64 v[32:33], v[20:21], v[32:33]
	v_fma_f64 v[20:21], v[20:21], v[30:31], -v[24:25]
	v_fmac_f64_e32 v[32:33], v[22:23], v[30:31]
	v_add_f64 v[22:23], v[0:1], v[20:21]
	v_add_f64 v[20:21], v[2:3], v[32:33]
.LBB3_17:                               ;   in Loop: Header=BB3_10 Depth=1
	s_andn2_b64 vcc, exec, s[58:59]
	s_cbranch_vccnz .LBB3_19
; %bb.18:                               ;   in Loop: Header=BB3_10 Depth=1
	v_ashrrev_i32_e32 v11, 31, v10
	v_lshl_add_u64 v[20:21], v[10:11], 4, v[14:15]
	v_lshl_add_u64 v[24:25], v[20:21], 0, s[34:35]
	global_load_dwordx4 v[20:23], v[8:9], off offset:-8
	s_nop 0
	global_load_dwordx2 v[24:25], v[24:25], off
	s_waitcnt vmcnt(0)
	v_fmac_f64_e32 v[0:1], v[24:25], v[20:21]
	v_fmac_f64_e32 v[2:3], v[24:25], v[22:23]
	v_mov_b64_e32 v[20:21], v[2:3]
	v_mov_b64_e32 v[22:23], v[0:1]
.LBB3_19:                               ;   in Loop: Header=BB3_10 Depth=1
	v_mov_b64_e32 v[2:3], v[20:21]
	v_mov_b64_e32 v[0:1], v[22:23]
.LBB3_20:                               ;   in Loop: Header=BB3_10 Depth=1
	s_or_b64 exec, exec, s[56:57]
.LBB3_21:                               ;   in Loop: Header=BB3_10 Depth=1
	s_andn2_saveexec_b64 s[54:55], s[54:55]
	s_cbranch_execz .LBB3_27
; %bb.22:                               ;   in Loop: Header=BB3_10 Depth=1
	v_lshl_add_u64 v[20:21], v[16:17], 0, s[34:35]
	s_andn2_b64 vcc, exec, s[46:47]
	s_mov_b64 s[56:57], -1
                                        ; implicit-def: $vgpr24_vgpr25
                                        ; implicit-def: $vgpr22_vgpr23
	s_cbranch_vccnz .LBB3_24
; %bb.23:                               ;   in Loop: Header=BB3_10 Depth=1
	global_load_dwordx2 v[30:31], v[20:21], off offset:-8
	global_load_dwordx4 v[22:25], v[8:9], off offset:-8
	s_mov_b64 s[56:57], 0
	s_waitcnt vmcnt(0)
	v_fma_f64 v[22:23], v[30:31], v[22:23], v[0:1]
	v_fma_f64 v[24:25], v[30:31], v[24:25], v[2:3]
.LBB3_24:                               ;   in Loop: Header=BB3_10 Depth=1
	s_andn2_b64 vcc, exec, s[56:57]
	s_cbranch_vccnz .LBB3_26
; %bb.25:                               ;   in Loop: Header=BB3_10 Depth=1
	global_load_dwordx4 v[22:25], v[8:9], off offset:-8
	global_load_dwordx4 v[30:33], v[20:21], off offset:-8
	s_waitcnt vmcnt(0)
	v_mul_f64 v[20:21], v[24:25], v[32:33]
	v_mul_f64 v[32:33], v[22:23], v[32:33]
	v_fma_f64 v[20:21], v[22:23], v[30:31], -v[20:21]
	v_fmac_f64_e32 v[32:33], v[24:25], v[30:31]
	v_add_f64 v[22:23], v[0:1], v[20:21]
	v_add_f64 v[24:25], v[2:3], v[32:33]
.LBB3_26:                               ;   in Loop: Header=BB3_10 Depth=1
	v_mov_b64_e32 v[2:3], v[24:25]
	v_mov_b64_e32 v[0:1], v[22:23]
.LBB3_27:                               ;   in Loop: Header=BB3_10 Depth=1
	s_or_b64 exec, exec, s[54:55]
.LBB3_28:                               ;   in Loop: Header=BB3_10 Depth=1
	s_andn2_saveexec_b64 s[6:7], s[6:7]
	s_cbranch_execz .LBB3_30
; %bb.29:                               ;   in Loop: Header=BB3_10 Depth=1
	v_lshl_add_u64 v[20:21], v[16:17], 0, s[34:35]
	v_lshl_add_u64 v[24:25], v[12:13], 4, v[20:21]
	global_load_dwordx4 v[20:23], v[8:9], off offset:-8
	global_load_dwordx4 v[30:33], v[24:25], off offset:-8
	s_waitcnt vmcnt(0)
	v_mul_f64 v[24:25], v[22:23], v[32:33]
	v_mul_f64 v[32:33], v[20:21], v[32:33]
	v_fma_f64 v[20:21], v[20:21], v[30:31], -v[24:25]
	v_fmac_f64_e32 v[32:33], v[22:23], v[30:31]
	v_add_f64 v[0:1], v[0:1], v[20:21]
	v_add_f64 v[2:3], v[2:3], v[32:33]
.LBB3_30:                               ;   in Loop: Header=BB3_10 Depth=1
	s_or_b64 exec, exec, s[6:7]
.LBB3_31:                               ;   in Loop: Header=BB3_10 Depth=1
	s_andn2_saveexec_b64 s[52:53], s[52:53]
	s_cbranch_execz .LBB3_8
; %bb.32:                               ;   in Loop: Header=BB3_10 Depth=1
	v_add_u32_e32 v12, v28, v27
	v_cmp_ge_i32_e32 vcc, s26, v12
	v_cmp_lt_i32_e64 s[6:7], -1, v12
	s_and_b64 s[54:55], vcc, s[6:7]
	s_and_saveexec_b64 s[6:7], s[54:55]
	s_cbranch_execz .LBB3_7
; %bb.33:                               ;   in Loop: Header=BB3_10 Depth=1
	v_lshl_add_u64 v[24:25], v[12:13], 4, v[6:7]
	global_load_dwordx4 v[20:23], v[8:9], off offset:-8
	global_load_dwordx4 v[30:33], v[24:25], off
	s_waitcnt vmcnt(0)
	v_mul_f64 v[24:25], v[32:33], v[22:23]
	v_mul_f64 v[32:33], v[32:33], v[20:21]
	v_fmac_f64_e32 v[24:25], v[30:31], v[20:21]
	v_fma_f64 v[20:21], v[30:31], v[22:23], -v[32:33]
	v_add_f64 v[0:1], v[0:1], v[24:25]
	v_add_f64 v[2:3], v[2:3], v[20:21]
	s_branch .LBB3_7
.LBB3_34:
	s_or_b64 exec, exec, s[44:45]
.LBB3_35:
	s_or_b64 exec, exec, s[30:31]
	v_lshlrev_b32_e32 v4, 4, v26
	ds_write_b128 v4, v[0:3]
	s_waitcnt lgkmcnt(0)
	s_barrier
.LBB3_36:
	v_cmp_gt_u32_e32 vcc, 64, v26
	s_and_saveexec_b64 s[0:1], vcc
	s_cbranch_execz .LBB3_51
; %bb.37:
	s_mul_i32 s4, s23, s3
	s_mul_hi_u32 s5, s22, s3
	s_add_i32 s5, s5, s4
	s_mul_i32 s4, s22, s3
	s_xor_b64 s[0:1], s[28:29], -1
	s_lshl_b64 s[4:5], s[4:5], 4
	s_add_u32 s3, s16, s4
	s_addc_u32 s6, s17, s5
	s_lshl_b64 s[4:5], s[18:19], 4
	s_add_u32 s4, s3, s4
	v_lshl_or_b32 v10, s2, 6, v26
	s_addc_u32 s5, s6, s5
	s_and_b64 vcc, exec, s[0:1]
	s_waitcnt lgkmcnt(0)
	v_cmp_gt_i32_e64 s[0:1], s25, v10
	s_cbranch_vccz .LBB3_43
; %bb.38:
	s_mov_b64 s[6:7], 0
	s_mov_b64 s[2:3], 0
                                        ; implicit-def: $vgpr2_vgpr3
                                        ; implicit-def: $vgpr8_vgpr9
	s_and_saveexec_b64 s[8:9], s[0:1]
	s_xor_b64 s[0:1], exec, s[8:9]
	s_cbranch_execz .LBB3_42
; %bb.39:
	v_cmp_neq_f64_e64 s[2:3], s[12:13], 0
	v_cmp_neq_f64_e64 s[8:9], s[14:15], 0
	v_ashrrev_i32_e32 v0, 31, v10
	v_mul_lo_u32 v1, s21, v10
	v_mul_lo_u32 v0, s20, v0
	v_mad_u64_u32 v[8:9], s[10:11], s20, v10, 0
	s_or_b64 s[2:3], s[2:3], s[8:9]
	v_mov_b64_e32 v[2:3], 0
	v_add3_u32 v9, v9, v0, v1
	s_andn2_b64 vcc, exec, s[2:3]
	v_mov_b64_e32 v[0:1], 0
	s_cbranch_vccnz .LBB3_41
; %bb.40:
	v_lshl_add_u64 v[0:1], v[8:9], 4, s[4:5]
	global_load_dwordx4 v[4:7], v[0:1], off
	s_waitcnt vmcnt(0)
	v_mul_f64 v[0:1], s[14:15], v[6:7]
	v_mul_f64 v[2:3], s[12:13], v[6:7]
	v_fma_f64 v[0:1], s[12:13], v[4:5], -v[0:1]
	v_fmac_f64_e32 v[2:3], s[14:15], v[4:5]
.LBB3_41:
	s_mov_b64 s[2:3], exec
.LBB3_42:
	s_or_b64 exec, exec, s[0:1]
	s_and_b64 vcc, exec, s[6:7]
	s_cbranch_vccnz .LBB3_44
	s_branch .LBB3_49
.LBB3_43:
	s_mov_b64 s[2:3], 0
                                        ; implicit-def: $vgpr2_vgpr3
                                        ; implicit-def: $vgpr8_vgpr9
	s_cbranch_execz .LBB3_49
.LBB3_44:
	v_lshlrev_b32_e32 v11, 4, v26
	ds_read_b128 v[0:3], v11
	ds_read_b128 v[4:7], v11 offset:1024
	ds_read_b128 v[12:15], v11 offset:2048
	;; [unrolled: 1-line block ×3, first 2 shown]
	v_cmp_gt_i32_e32 vcc, s25, v10
	s_waitcnt lgkmcnt(2)
	v_add_f64 v[0:1], v[0:1], v[4:5]
	v_add_f64 v[4:5], v[2:3], v[6:7]
	s_waitcnt lgkmcnt(1)
	v_add_f64 v[6:7], v[0:1], v[12:13]
	ds_read_b128 v[0:3], v11 offset:4096
	v_add_f64 v[8:9], v[4:5], v[14:15]
	s_waitcnt lgkmcnt(1)
	v_add_f64 v[12:13], v[6:7], v[16:17]
	ds_read_b128 v[4:7], v11 offset:5120
	;; [unrolled: 4-line block ×9, first 2 shown]
	v_add_f64 v[2:3], v[8:9], v[2:3]
	s_waitcnt lgkmcnt(1)
	v_add_f64 v[4:5], v[0:1], v[4:5]
	v_add_f64 v[8:9], v[2:3], v[6:7]
	ds_read_b128 v[0:3], v11 offset:13312
	s_waitcnt lgkmcnt(1)
	v_add_f64 v[16:17], v[4:5], v[12:13]
	ds_read_b128 v[4:7], v11 offset:14336
	v_add_f64 v[8:9], v[8:9], v[14:15]
	ds_read_b128 v[12:15], v11 offset:15360
	s_waitcnt lgkmcnt(2)
	v_add_f64 v[0:1], v[16:17], v[0:1]
	v_add_f64 v[2:3], v[8:9], v[2:3]
	s_waitcnt lgkmcnt(1)
	v_add_f64 v[0:1], v[0:1], v[4:5]
	v_add_f64 v[2:3], v[2:3], v[6:7]
	;; [unrolled: 3-line block ×3, first 2 shown]
	ds_write_b128 v11, v[4:7]
                                        ; implicit-def: $vgpr2_vgpr3
                                        ; implicit-def: $vgpr8_vgpr9
	s_and_saveexec_b64 s[0:1], vcc
	s_cbranch_execz .LBB3_48
; %bb.45:
	v_mul_f64 v[0:1], s[38:39], v[6:7]
	v_mul_f64 v[2:3], s[36:37], v[6:7]
	v_cmp_neq_f64_e64 s[6:7], s[12:13], 0
	v_cmp_neq_f64_e64 s[8:9], s[14:15], 0
	v_fma_f64 v[0:1], s[36:37], v[4:5], -v[0:1]
	v_fmac_f64_e32 v[2:3], s[38:39], v[4:5]
	v_ashrrev_i32_e32 v4, 31, v10
	v_mul_lo_u32 v5, s21, v10
	v_mul_lo_u32 v4, s20, v4
	v_mad_u64_u32 v[8:9], s[10:11], s20, v10, 0
	s_or_b64 s[6:7], s[6:7], s[8:9]
	s_andn2_b64 vcc, exec, s[6:7]
	v_add3_u32 v9, v9, v4, v5
	s_cbranch_vccnz .LBB3_47
; %bb.46:
	v_lshl_add_u64 v[4:5], v[8:9], 4, s[4:5]
	global_load_dwordx4 v[4:7], v[4:5], off
	s_waitcnt vmcnt(0)
	v_mul_f64 v[10:11], s[14:15], v[6:7]
	v_mul_f64 v[6:7], s[12:13], v[6:7]
	v_fma_f64 v[10:11], s[12:13], v[4:5], -v[10:11]
	v_fmac_f64_e32 v[6:7], s[14:15], v[4:5]
	v_add_f64 v[0:1], v[0:1], v[10:11]
	v_add_f64 v[2:3], v[2:3], v[6:7]
.LBB3_47:
	s_or_b64 s[2:3], s[2:3], exec
.LBB3_48:
	s_or_b64 exec, exec, s[0:1]
.LBB3_49:
	s_and_b64 exec, exec, s[2:3]
	s_cbranch_execz .LBB3_51
; %bb.50:
	v_lshl_add_u64 v[4:5], v[8:9], 4, s[4:5]
	global_store_dwordx4 v[4:5], v[0:3], off
.LBB3_51:
	s_endpgm
	.section	.rodata,"a",@progbits
	.p2align	6, 0x0
	.amdhsa_kernel _ZL20rocblas_hbmvn_kernelILi64ELi16E19rocblas_complex_numIdEPKS1_PS1_EvbiiT1_T2_lllS6_lllS5_T3_llli
		.amdhsa_group_segment_fixed_size 16384
		.amdhsa_private_segment_fixed_size 0
		.amdhsa_kernarg_size 408
		.amdhsa_user_sgpr_count 2
		.amdhsa_user_sgpr_dispatch_ptr 0
		.amdhsa_user_sgpr_queue_ptr 0
		.amdhsa_user_sgpr_kernarg_segment_ptr 1
		.amdhsa_user_sgpr_dispatch_id 0
		.amdhsa_user_sgpr_kernarg_preload_length 0
		.amdhsa_user_sgpr_kernarg_preload_offset 0
		.amdhsa_user_sgpr_private_segment_size 0
		.amdhsa_uses_dynamic_stack 0
		.amdhsa_enable_private_segment 0
		.amdhsa_system_sgpr_workgroup_id_x 1
		.amdhsa_system_sgpr_workgroup_id_y 0
		.amdhsa_system_sgpr_workgroup_id_z 1
		.amdhsa_system_sgpr_workgroup_info 0
		.amdhsa_system_vgpr_workitem_id 1
		.amdhsa_next_free_vgpr 34
		.amdhsa_next_free_sgpr 60
		.amdhsa_accum_offset 36
		.amdhsa_reserve_vcc 1
		.amdhsa_float_round_mode_32 0
		.amdhsa_float_round_mode_16_64 0
		.amdhsa_float_denorm_mode_32 3
		.amdhsa_float_denorm_mode_16_64 3
		.amdhsa_dx10_clamp 1
		.amdhsa_ieee_mode 1
		.amdhsa_fp16_overflow 0
		.amdhsa_tg_split 0
		.amdhsa_exception_fp_ieee_invalid_op 0
		.amdhsa_exception_fp_denorm_src 0
		.amdhsa_exception_fp_ieee_div_zero 0
		.amdhsa_exception_fp_ieee_overflow 0
		.amdhsa_exception_fp_ieee_underflow 0
		.amdhsa_exception_fp_ieee_inexact 0
		.amdhsa_exception_int_div_zero 0
	.end_amdhsa_kernel
	.section	.text._ZL20rocblas_hbmvn_kernelILi64ELi16E19rocblas_complex_numIdEPKS1_PS1_EvbiiT1_T2_lllS6_lllS5_T3_llli,"axG",@progbits,_ZL20rocblas_hbmvn_kernelILi64ELi16E19rocblas_complex_numIdEPKS1_PS1_EvbiiT1_T2_lllS6_lllS5_T3_llli,comdat
.Lfunc_end3:
	.size	_ZL20rocblas_hbmvn_kernelILi64ELi16E19rocblas_complex_numIdEPKS1_PS1_EvbiiT1_T2_lllS6_lllS5_T3_llli, .Lfunc_end3-_ZL20rocblas_hbmvn_kernelILi64ELi16E19rocblas_complex_numIdEPKS1_PS1_EvbiiT1_T2_lllS6_lllS5_T3_llli
                                        ; -- End function
	.set _ZL20rocblas_hbmvn_kernelILi64ELi16E19rocblas_complex_numIdEPKS1_PS1_EvbiiT1_T2_lllS6_lllS5_T3_llli.num_vgpr, 34
	.set _ZL20rocblas_hbmvn_kernelILi64ELi16E19rocblas_complex_numIdEPKS1_PS1_EvbiiT1_T2_lllS6_lllS5_T3_llli.num_agpr, 0
	.set _ZL20rocblas_hbmvn_kernelILi64ELi16E19rocblas_complex_numIdEPKS1_PS1_EvbiiT1_T2_lllS6_lllS5_T3_llli.numbered_sgpr, 60
	.set _ZL20rocblas_hbmvn_kernelILi64ELi16E19rocblas_complex_numIdEPKS1_PS1_EvbiiT1_T2_lllS6_lllS5_T3_llli.num_named_barrier, 0
	.set _ZL20rocblas_hbmvn_kernelILi64ELi16E19rocblas_complex_numIdEPKS1_PS1_EvbiiT1_T2_lllS6_lllS5_T3_llli.private_seg_size, 0
	.set _ZL20rocblas_hbmvn_kernelILi64ELi16E19rocblas_complex_numIdEPKS1_PS1_EvbiiT1_T2_lllS6_lllS5_T3_llli.uses_vcc, 1
	.set _ZL20rocblas_hbmvn_kernelILi64ELi16E19rocblas_complex_numIdEPKS1_PS1_EvbiiT1_T2_lllS6_lllS5_T3_llli.uses_flat_scratch, 0
	.set _ZL20rocblas_hbmvn_kernelILi64ELi16E19rocblas_complex_numIdEPKS1_PS1_EvbiiT1_T2_lllS6_lllS5_T3_llli.has_dyn_sized_stack, 0
	.set _ZL20rocblas_hbmvn_kernelILi64ELi16E19rocblas_complex_numIdEPKS1_PS1_EvbiiT1_T2_lllS6_lllS5_T3_llli.has_recursion, 0
	.set _ZL20rocblas_hbmvn_kernelILi64ELi16E19rocblas_complex_numIdEPKS1_PS1_EvbiiT1_T2_lllS6_lllS5_T3_llli.has_indirect_call, 0
	.section	.AMDGPU.csdata,"",@progbits
; Kernel info:
; codeLenInByte = 2248
; TotalNumSgprs: 66
; NumVgprs: 34
; NumAgprs: 0
; TotalNumVgprs: 34
; ScratchSize: 0
; MemoryBound: 1
; FloatMode: 240
; IeeeMode: 1
; LDSByteSize: 16384 bytes/workgroup (compile time only)
; SGPRBlocks: 8
; VGPRBlocks: 4
; NumSGPRsForWavesPerEU: 66
; NumVGPRsForWavesPerEU: 34
; AccumOffset: 36
; Occupancy: 8
; WaveLimiterHint : 0
; COMPUTE_PGM_RSRC2:SCRATCH_EN: 0
; COMPUTE_PGM_RSRC2:USER_SGPR: 2
; COMPUTE_PGM_RSRC2:TRAP_HANDLER: 0
; COMPUTE_PGM_RSRC2:TGID_X_EN: 1
; COMPUTE_PGM_RSRC2:TGID_Y_EN: 0
; COMPUTE_PGM_RSRC2:TGID_Z_EN: 1
; COMPUTE_PGM_RSRC2:TIDIG_COMP_CNT: 1
; COMPUTE_PGM_RSRC3_GFX90A:ACCUM_OFFSET: 8
; COMPUTE_PGM_RSRC3_GFX90A:TG_SPLIT: 0
	.section	.text._ZL20rocblas_hbmvn_kernelILi64ELi16EPK19rocblas_complex_numIfEPKS3_PKPS1_EvbiiT1_T2_lllSA_lllS9_T3_llli,"axG",@progbits,_ZL20rocblas_hbmvn_kernelILi64ELi16EPK19rocblas_complex_numIfEPKS3_PKPS1_EvbiiT1_T2_lllSA_lllS9_T3_llli,comdat
	.globl	_ZL20rocblas_hbmvn_kernelILi64ELi16EPK19rocblas_complex_numIfEPKS3_PKPS1_EvbiiT1_T2_lllSA_lllS9_T3_llli ; -- Begin function _ZL20rocblas_hbmvn_kernelILi64ELi16EPK19rocblas_complex_numIfEPKS3_PKPS1_EvbiiT1_T2_lllSA_lllS9_T3_llli
	.p2align	8
	.type	_ZL20rocblas_hbmvn_kernelILi64ELi16EPK19rocblas_complex_numIfEPKS3_PKPS1_EvbiiT1_T2_lllSA_lllS9_T3_llli,@function
_ZL20rocblas_hbmvn_kernelILi64ELi16EPK19rocblas_complex_numIfEPKS3_PKPS1_EvbiiT1_T2_lllSA_lllS9_T3_llli: ; @_ZL20rocblas_hbmvn_kernelILi64ELi16EPK19rocblas_complex_numIfEPKS3_PKPS1_EvbiiT1_T2_lllSA_lllS9_T3_llli
; %bb.0:
	s_load_dwordx2 s[6:7], s[0:1], 0x94
	s_mov_b32 s4, s3
	s_waitcnt lgkmcnt(0)
	s_and_b32 s5, s7, 0xffff
	s_lshr_b32 s7, s6, 16
	s_and_b32 s3, s6, 0xffff
	s_mul_i32 s6, s7, s3
	s_mul_i32 s6, s6, s5
	s_cmpk_lg_i32 s6, 0x400
	s_cbranch_scc1 .LBB4_52
; %bb.1:
	s_load_dwordx8 s[16:23], s[0:1], 0x10
	s_load_dwordx8 s[8:15], s[0:1], 0x58
	s_mov_b32 s5, 0
	s_waitcnt lgkmcnt(0)
	s_load_dwordx2 s[26:27], s[16:17], 0x0
	s_load_dwordx2 s[24:25], s[8:9], 0x0
	s_waitcnt lgkmcnt(0)
	v_cmp_eq_f32_e64 s[6:7], s26, 0
	v_cmp_eq_f32_e64 s[8:9], s27, 0
	v_cmp_eq_f32_e64 s[16:17], s24, 1.0
	v_cmp_eq_f32_e64 s[28:29], s25, 0
	s_and_b64 s[6:7], s[6:7], s[8:9]
	s_and_b64 s[8:9], s[16:17], s[28:29]
	;; [unrolled: 1-line block ×3, first 2 shown]
	s_and_b64 vcc, exec, s[6:7]
	s_cbranch_vccnz .LBB4_52
; %bb.2:
	s_or_b32 s6, s26, s27
	s_bitset0_b32 s6, 31
	s_cmp_lg_u32 s6, 0
	s_cselect_b64 s[34:35], -1, 0
	s_cmp_eq_u32 s6, 0
	s_cselect_b64 s[28:29], -1, 0
	s_and_b64 vcc, exec, s[34:35]
	s_cbranch_vccnz .LBB4_4
; %bb.3:
	s_mov_b32 s7, 0
	s_mov_b32 s6, s4
	s_mov_b64 s[8:9], 0
	s_mov_b64 s[30:31], 0
	s_cbranch_execz .LBB4_5
	s_branch .LBB4_6
.LBB4_4:
	s_mov_b64 s[6:7], s[4:5]
	s_mov_b64 s[8:9], 0
	;; [unrolled: 1-line block ×3, first 2 shown]
.LBB4_5:
	s_lshl_b64 s[4:5], s[4:5], 3
	s_add_u32 s4, s18, s4
	s_addc_u32 s5, s19, s5
	s_load_dwordx2 s[4:5], s[4:5], 0x0
	s_lshl_b64 s[16:17], s[20:21], 3
	s_waitcnt lgkmcnt(0)
	s_add_u32 s30, s4, s16
	s_addc_u32 s31, s5, s17
.LBB4_6:
	s_load_dwordx4 s[16:19], s[0:1], 0x38
	s_load_dwordx2 s[36:37], s[0:1], 0x48
	v_cndmask_b32_e64 v1, 0, 1, s[34:35]
	v_cmp_ne_u32_e64 s[4:5], 1, v1
	s_andn2_b64 vcc, exec, s[34:35]
	s_cbranch_vccnz .LBB4_8
; %bb.7:
	s_lshl_b64 s[8:9], s[6:7], 3
	s_waitcnt lgkmcnt(0)
	s_add_u32 s8, s16, s8
	s_addc_u32 s9, s17, s9
	s_load_dwordx2 s[8:9], s[8:9], 0x0
	s_lshl_b64 s[16:17], s[18:19], 3
	s_waitcnt lgkmcnt(0)
	s_add_u32 s8, s8, s16
	s_addc_u32 s9, s9, s17
.LBB4_8:
	s_waitcnt lgkmcnt(0)
	s_load_dwordx4 s[16:19], s[0:1], 0x0
	s_lshl_b64 s[0:1], s[6:7], 3
	s_add_u32 s0, s10, s0
	s_addc_u32 s1, s11, s1
	s_load_dwordx2 s[10:11], s[0:1], 0x0
	v_and_b32_e32 v1, 0x3ff, v0
	v_bfe_u32 v0, v0, 10, 10
	s_and_b64 vcc, exec, s[4:5]
	v_mad_u32_u24 v20, v0, s3, v1
	s_cbranch_vccnz .LBB4_40
; %bb.9:
	v_lshrrev_b32_e32 v21, 6, v20
	s_waitcnt lgkmcnt(0)
	v_cmp_gt_i32_e32 vcc, s17, v21
	v_mov_b32_e32 v13, 0
	v_mov_b32_e32 v12, 0
	s_and_saveexec_b64 s[20:21], vcc
	s_cbranch_execz .LBB4_39
; %bb.10:
	v_and_b32_e32 v10, 63, v20
	s_lshl_b32 s3, s2, 6
	v_or_b32_e32 v0, s3, v10
	v_ashrrev_i32_e32 v1, 31, v0
	s_bitcmp1_b32 s16, 0
	v_mul_lo_u32 v4, s22, v1
	v_mul_lo_u32 v5, s23, v0
	v_mad_u64_u32 v[2:3], s[38:39], s22, v0, 0
	s_cselect_b64 s[0:1], -1, 0
	v_add3_u32 v3, v3, v4, v5
	v_mad_u64_u32 v[4:5], s[38:39], s36, v21, 0
	s_and_b64 s[4:5], s[0:1], exec
	v_mov_b32_e32 v6, v5
	s_cselect_b32 s16, s18, 0
	v_mad_u64_u32 v[6:7], s[38:39], s37, v21, v[6:7]
	v_mov_b32_e32 v5, v6
	v_sub_u32_e32 v6, s16, v10
	s_xor_b64 s[34:35], s[0:1], -1
	v_lshl_add_u64 v[4:5], v[4:5], 3, s[8:9]
	v_subrev_u32_e32 v22, s3, v6
	v_mad_u64_u32 v[6:7], s[8:9], s22, v21, 0
	s_cmp_eq_u32 s18, 0
	v_mov_b32_e32 v8, v7
	s_cselect_b64 s[4:5], -1, 0
	v_mad_u64_u32 v[8:9], s[8:9], s23, v21, v[8:9]
	s_or_b64 s[4:5], s[34:35], s[4:5]
	s_lshl_b64 s[36:37], s[36:37], 7
	s_lshl_b64 s[38:39], s[22:23], 7
	s_add_i32 s3, s18, s3
	s_lshl_b64 s[8:9], s[22:23], 3
	v_mov_b32_e32 v7, v8
	v_add_u32_e32 v8, s3, v10
	s_add_u32 s3, s8, -8
	v_lshlrev_b64 v[10:11], 3, v[0:1]
	s_addc_u32 s16, s9, -1
	v_mad_u64_u32 v[10:11], s[8:9], v21, s3, v[10:11]
	v_mov_b32_e32 v12, v11
	v_mov_b32_e32 v15, 0
	v_mad_u64_u32 v[12:13], s[8:9], v21, s16, v[12:13]
	s_add_u32 s22, s38, 0xffffff80
	v_mov_b32_e32 v14, v15
	v_cndmask_b32_e64 v9, 0, 1, s[4:5]
	v_cmp_gt_i32_e64 s[6:7], s17, v0
	v_lshl_add_u64 v[2:3], v[2:3], 3, s[30:31]
	v_lshlrev_b64 v[6:7], 3, v[6:7]
	v_sub_u32_e32 v8, v8, v21
	v_mov_b32_e32 v11, v12
	s_addc_u32 s23, s39, -1
	v_sub_u32_e32 v1, v0, v21
	s_mov_b64 s[40:41], 0
	v_cmp_ne_u32_e64 s[4:5], 1, v9
	v_mov_b64_e32 v[12:13], v[14:15]
	s_branch .LBB4_14
.LBB4_11:                               ;   in Loop: Header=BB4_14 Depth=1
	s_or_b64 exec, exec, s[8:9]
.LBB4_12:                               ;   in Loop: Header=BB4_14 Depth=1
	s_or_b64 exec, exec, s[44:45]
.LBB4_13:                               ;   in Loop: Header=BB4_14 Depth=1
	s_or_b64 exec, exec, s[42:43]
	v_add_u32_e32 v21, 16, v21
	v_cmp_le_i32_e32 vcc, s17, v21
	v_lshl_add_u64 v[4:5], v[4:5], 0, s[36:37]
	v_lshl_add_u64 v[6:7], v[6:7], 0, s[38:39]
	v_add_u32_e32 v8, -16, v8
	v_lshl_add_u64 v[10:11], v[10:11], 0, s[22:23]
	s_or_b64 s[40:41], vcc, s[40:41]
	v_add_u32_e32 v1, -16, v1
	s_andn2_b64 exec, exec, s[40:41]
	s_cbranch_execz .LBB4_38
.LBB4_14:                               ; =>This Inner Loop Header: Depth=1
	s_and_saveexec_b64 s[42:43], s[6:7]
	s_cbranch_execz .LBB4_13
; %bb.15:                               ;   in Loop: Header=BB4_14 Depth=1
	v_cmp_gt_i32_e32 vcc, v0, v21
	s_nop 1
	v_cndmask_b32_e64 v9, 0, 1, vcc
	v_cmp_lt_i32_e32 vcc, v0, v21
	s_nop 1
	v_cndmask_b32_e64 v14, 0, 1, vcc
	v_cndmask_b32_e64 v9, v14, v9, s[0:1]
	v_and_b32_e32 v9, 1, v9
	v_cmp_eq_u32_e32 vcc, 1, v9
	s_xor_b64 s[8:9], vcc, -1
	s_and_saveexec_b64 s[44:45], s[8:9]
	s_xor_b64 s[44:45], exec, s[44:45]
	s_cbranch_execz .LBB4_35
; %bb.16:                               ;   in Loop: Header=BB4_14 Depth=1
	v_add_u32_e32 v9, s18, v1
	v_cndmask_b32_e64 v14, v1, v9, s[0:1]
	v_cmp_le_i32_e32 vcc, s18, v14
	v_cmp_gt_i32_e64 s[8:9], 1, v14
	s_or_b64 s[8:9], vcc, s[8:9]
	s_and_saveexec_b64 s[46:47], s[8:9]
	s_xor_b64 s[8:9], exec, s[46:47]
	s_cbranch_execz .LBB4_32
; %bb.17:                               ;   in Loop: Header=BB4_14 Depth=1
	v_cmp_ne_u32_e32 vcc, 0, v14
	s_and_saveexec_b64 s[46:47], vcc
	s_xor_b64 s[46:47], exec, s[46:47]
	s_cbranch_execz .LBB4_25
; %bb.18:                               ;   in Loop: Header=BB4_14 Depth=1
	v_cmp_eq_u32_e32 vcc, s18, v14
	s_and_saveexec_b64 s[48:49], vcc
	s_cbranch_execz .LBB4_24
; %bb.19:                               ;   in Loop: Header=BB4_14 Depth=1
	s_mov_b64 s[50:51], -1
	s_and_b64 vcc, exec, s[34:35]
                                        ; implicit-def: $vgpr16_vgpr17
	s_cbranch_vccz .LBB4_21
; %bb.20:                               ;   in Loop: Header=BB4_14 Depth=1
	v_lshl_add_u64 v[16:17], s[30:31], 0, v[10:11]
	flat_load_dwordx2 v[18:19], v[4:5]
	flat_load_dwordx2 v[24:25], v[16:17]
	s_mov_b64 s[50:51], 0
	s_waitcnt vmcnt(0) lgkmcnt(0)
	v_pk_mul_f32 v[16:17], v[18:19], v[24:25] op_sel:[1,1] op_sel_hi:[0,1]
	v_pk_fma_f32 v[26:27], v[18:19], v[24:25], v[16:17] neg_lo:[0,0,1] neg_hi:[0,0,1]
	v_pk_fma_f32 v[16:17], v[18:19], v[24:25], v[16:17] op_sel_hi:[1,0,1]
	s_nop 0
	v_mov_b32_e32 v27, v17
	v_pk_add_f32 v[16:17], v[12:13], v[26:27]
.LBB4_21:                               ;   in Loop: Header=BB4_14 Depth=1
	s_andn2_b64 vcc, exec, s[50:51]
	s_cbranch_vccnz .LBB4_23
; %bb.22:                               ;   in Loop: Header=BB4_14 Depth=1
	v_ashrrev_i32_e32 v9, 31, v8
	v_lshl_add_u64 v[16:17], v[8:9], 3, v[6:7]
	v_lshl_add_u64 v[16:17], s[30:31], 0, v[16:17]
	flat_load_dword v14, v[16:17]
	flat_load_dwordx2 v[18:19], v[4:5]
	s_waitcnt vmcnt(0) lgkmcnt(0)
	v_pk_fma_f32 v[16:17], v[14:15], v[18:19], v[12:13] op_sel_hi:[0,1,1]
.LBB4_23:                               ;   in Loop: Header=BB4_14 Depth=1
	v_mov_b64_e32 v[12:13], v[16:17]
.LBB4_24:                               ;   in Loop: Header=BB4_14 Depth=1
	s_or_b64 exec, exec, s[48:49]
.LBB4_25:                               ;   in Loop: Header=BB4_14 Depth=1
	s_andn2_saveexec_b64 s[46:47], s[46:47]
	s_cbranch_execz .LBB4_31
; %bb.26:                               ;   in Loop: Header=BB4_14 Depth=1
	v_lshl_add_u64 v[16:17], s[30:31], 0, v[6:7]
	s_and_b64 vcc, exec, s[4:5]
	s_mov_b64 s[48:49], -1
                                        ; implicit-def: $vgpr18_vgpr19
	s_cbranch_vccnz .LBB4_28
; %bb.27:                               ;   in Loop: Header=BB4_14 Depth=1
	flat_load_dword v14, v[16:17]
	flat_load_dwordx2 v[18:19], v[4:5]
	s_mov_b64 s[48:49], 0
	s_waitcnt vmcnt(0) lgkmcnt(0)
	v_pk_fma_f32 v[18:19], v[14:15], v[18:19], v[12:13] op_sel_hi:[0,1,1]
.LBB4_28:                               ;   in Loop: Header=BB4_14 Depth=1
	s_andn2_b64 vcc, exec, s[48:49]
	s_cbranch_vccnz .LBB4_30
; %bb.29:                               ;   in Loop: Header=BB4_14 Depth=1
	flat_load_dwordx2 v[18:19], v[16:17]
	flat_load_dwordx2 v[24:25], v[4:5]
	s_waitcnt vmcnt(0) lgkmcnt(0)
	v_pk_mul_f32 v[16:17], v[24:25], v[18:19] op_sel:[1,1] op_sel_hi:[0,1]
	v_pk_fma_f32 v[26:27], v[24:25], v[18:19], v[16:17] neg_lo:[0,0,1] neg_hi:[0,0,1]
	v_pk_fma_f32 v[16:17], v[24:25], v[18:19], v[16:17] op_sel_hi:[1,0,1]
	s_nop 0
	v_mov_b32_e32 v27, v17
	v_pk_add_f32 v[18:19], v[12:13], v[26:27]
.LBB4_30:                               ;   in Loop: Header=BB4_14 Depth=1
	s_nop 0
	v_mov_b64_e32 v[12:13], v[18:19]
.LBB4_31:                               ;   in Loop: Header=BB4_14 Depth=1
	s_or_b64 exec, exec, s[46:47]
.LBB4_32:                               ;   in Loop: Header=BB4_14 Depth=1
	s_andn2_saveexec_b64 s[8:9], s[8:9]
	s_cbranch_execz .LBB4_34
; %bb.33:                               ;   in Loop: Header=BB4_14 Depth=1
	v_lshl_add_u64 v[16:17], v[14:15], 3, v[6:7]
	v_lshl_add_u64 v[16:17], s[30:31], 0, v[16:17]
	flat_load_dwordx2 v[18:19], v[4:5]
	flat_load_dwordx2 v[24:25], v[16:17]
	s_waitcnt vmcnt(0) lgkmcnt(0)
	v_pk_mul_f32 v[16:17], v[18:19], v[24:25] op_sel:[1,1] op_sel_hi:[0,1]
	v_pk_fma_f32 v[26:27], v[18:19], v[24:25], v[16:17] neg_lo:[0,0,1] neg_hi:[0,0,1]
	v_pk_fma_f32 v[16:17], v[18:19], v[24:25], v[16:17] op_sel_hi:[1,0,1]
	s_nop 0
	v_mov_b32_e32 v27, v17
	v_pk_add_f32 v[12:13], v[12:13], v[26:27]
.LBB4_34:                               ;   in Loop: Header=BB4_14 Depth=1
	s_or_b64 exec, exec, s[8:9]
.LBB4_35:                               ;   in Loop: Header=BB4_14 Depth=1
	s_andn2_saveexec_b64 s[44:45], s[44:45]
	s_cbranch_execz .LBB4_12
; %bb.36:                               ;   in Loop: Header=BB4_14 Depth=1
	v_add_u32_e32 v14, v22, v21
	v_cmp_ge_i32_e32 vcc, s18, v14
	v_cmp_lt_i32_e64 s[8:9], -1, v14
	s_and_b64 s[46:47], vcc, s[8:9]
	s_and_saveexec_b64 s[8:9], s[46:47]
	s_cbranch_execz .LBB4_11
; %bb.37:                               ;   in Loop: Header=BB4_14 Depth=1
	v_lshl_add_u64 v[16:17], v[14:15], 3, v[2:3]
	flat_load_dwordx2 v[18:19], v[4:5]
	flat_load_dwordx2 v[24:25], v[16:17]
	s_waitcnt vmcnt(0) lgkmcnt(0)
	v_pk_mul_f32 v[16:17], v[24:25], v[18:19] op_sel:[1,1] op_sel_hi:[1,0]
	s_nop 0
	v_pk_fma_f32 v[26:27], v[24:25], v[18:19], v[16:17]
	v_pk_fma_f32 v[16:17], v[24:25], v[18:19], v[16:17] op_sel_hi:[0,1,1] neg_lo:[0,0,1] neg_hi:[0,0,1]
	v_mov_b32_e32 v27, v17
	v_pk_add_f32 v[12:13], v[12:13], v[26:27]
	s_branch .LBB4_11
.LBB4_38:
	s_or_b64 exec, exec, s[40:41]
.LBB4_39:
	s_or_b64 exec, exec, s[20:21]
	v_lshlrev_b32_e32 v0, 3, v20
	ds_write_b64 v0, v[12:13]
	s_waitcnt lgkmcnt(0)
	s_barrier
.LBB4_40:
	v_cmp_gt_u32_e32 vcc, 64, v20
	s_and_saveexec_b64 s[0:1], vcc
	s_cbranch_execz .LBB4_52
; %bb.41:
	s_lshl_b64 s[0:1], s[12:13], 3
	s_waitcnt lgkmcnt(0)
	s_add_u32 s4, s10, s0
	v_lshl_or_b32 v4, s2, 6, v20
	s_addc_u32 s5, s11, s1
	s_mov_b64 s[2:3], -1
	s_and_b64 vcc, exec, s[28:29]
	v_cmp_gt_i32_e64 s[0:1], s17, v4
	s_cbranch_vccz .LBB4_47
; %bb.42:
	s_and_saveexec_b64 s[2:3], s[0:1]
	s_cbranch_execz .LBB4_46
; %bb.43:
	v_ashrrev_i32_e32 v0, 31, v4
	v_cmp_neq_f32_e64 s[0:1], s24, 0
	v_cmp_neq_f32_e64 s[6:7], s25, 0
	v_mul_lo_u32 v1, s15, v4
	v_mul_lo_u32 v0, s14, v0
	v_mad_u64_u32 v[2:3], s[8:9], s14, v4, 0
	v_add3_u32 v3, v3, v0, v1
	s_or_b64 s[0:1], s[0:1], s[6:7]
	v_mov_b32_e32 v0, 0
	s_andn2_b64 vcc, exec, s[0:1]
	v_lshl_add_u64 v[2:3], v[2:3], 3, s[4:5]
	v_mov_b32_e32 v1, 0
	s_cbranch_vccnz .LBB4_45
; %bb.44:
	flat_load_dwordx2 v[6:7], v[2:3]
	s_waitcnt vmcnt(0) lgkmcnt(0)
	v_pk_mul_f32 v[8:9], s[24:25], v[6:7] op_sel:[1,1] op_sel_hi:[0,1]
	v_pk_fma_f32 v[0:1], s[24:25], v[6:7], v[8:9] neg_lo:[0,0,1] neg_hi:[0,0,1]
	v_pk_fma_f32 v[6:7], s[24:25], v[6:7], v[8:9] op_sel_hi:[1,0,1]
	s_nop 0
	v_mov_b32_e32 v1, v7
.LBB4_45:
	flat_store_dwordx2 v[2:3], v[0:1]
.LBB4_46:
	s_or_b64 exec, exec, s[2:3]
	s_mov_b64 s[2:3], 0
.LBB4_47:
	s_andn2_b64 vcc, exec, s[2:3]
	s_cbranch_vccnz .LBB4_52
; %bb.48:
	v_lshlrev_b32_e32 v5, 3, v20
	ds_read2st64_b64 v[0:3], v5 offset1:1
	ds_read2st64_b64 v[6:9], v5 offset0:2 offset1:3
	ds_read2st64_b64 v[10:13], v5 offset0:4 offset1:5
	;; [unrolled: 1-line block ×4, first 2 shown]
	s_waitcnt lgkmcnt(0)
	v_pk_add_f32 v[0:1], v[0:1], v[2:3]
	v_cmp_gt_i32_e32 vcc, s17, v4
	v_pk_add_f32 v[0:1], v[0:1], v[6:7]
	s_nop 0
	v_pk_add_f32 v[0:1], v[0:1], v[8:9]
	s_nop 0
	v_pk_add_f32 v[0:1], v[0:1], v[10:11]
	s_nop 0
	v_pk_add_f32 v[0:1], v[0:1], v[12:13]
	s_nop 0
	v_pk_add_f32 v[0:1], v[0:1], v[14:15]
	s_nop 0
	v_pk_add_f32 v[6:7], v[0:1], v[16:17]
	ds_read2st64_b64 v[0:3], v5 offset0:10 offset1:11
	v_pk_add_f32 v[10:11], v[6:7], v[18:19]
	ds_read2st64_b64 v[6:9], v5 offset0:12 offset1:13
	;; [unrolled: 2-line block ×3, first 2 shown]
	s_waitcnt lgkmcnt(0)
	v_pk_add_f32 v[0:1], v[14:15], v[0:1]
	s_nop 0
	v_pk_add_f32 v[0:1], v[0:1], v[2:3]
	s_nop 0
	v_pk_add_f32 v[0:1], v[0:1], v[6:7]
	s_nop 0
	v_pk_add_f32 v[0:1], v[0:1], v[8:9]
	s_nop 0
	v_pk_add_f32 v[0:1], v[0:1], v[10:11]
	s_nop 0
	v_pk_add_f32 v[2:3], v[0:1], v[12:13]
	ds_write_b64 v5, v[2:3]
	s_and_b64 exec, exec, vcc
	s_cbranch_execz .LBB4_52
; %bb.49:
	v_pk_mul_f32 v[6:7], v[2:3], s[26:27] op_sel:[1,1] op_sel_hi:[1,0]
	v_cmp_neq_f32_e64 s[0:1], s24, 0
	v_pk_fma_f32 v[0:1], v[2:3], s[26:27], v[6:7] op_sel_hi:[0,1,1] neg_lo:[0,0,1] neg_hi:[0,0,1]
	v_pk_fma_f32 v[2:3], v[2:3], s[26:27], v[6:7] op_sel_hi:[0,1,1]
	v_ashrrev_i32_e32 v1, 31, v4
	v_cmp_neq_f32_e64 s[2:3], s25, 0
	v_mul_lo_u32 v2, s15, v4
	v_mul_lo_u32 v1, s14, v1
	v_mad_u64_u32 v[4:5], s[6:7], s14, v4, 0
	v_add3_u32 v5, v5, v1, v2
	s_or_b64 s[0:1], s[0:1], s[2:3]
	s_andn2_b64 vcc, exec, s[0:1]
	v_lshl_add_u64 v[4:5], v[4:5], 3, s[4:5]
	s_cbranch_vccnz .LBB4_51
; %bb.50:
	flat_load_dwordx2 v[6:7], v[4:5]
	v_mov_b32_e32 v1, v3
	s_waitcnt vmcnt(0) lgkmcnt(0)
	v_pk_mul_f32 v[2:3], s[24:25], v[6:7] op_sel:[1,1] op_sel_hi:[0,1]
	v_pk_fma_f32 v[8:9], s[24:25], v[6:7], v[2:3] neg_lo:[0,0,1] neg_hi:[0,0,1]
	v_pk_fma_f32 v[2:3], s[24:25], v[6:7], v[2:3] op_sel_hi:[1,0,1]
	s_nop 0
	v_mov_b32_e32 v9, v3
	v_pk_add_f32 v[0:1], v[0:1], v[8:9]
	s_nop 0
	v_mov_b32_e32 v3, v1
.LBB4_51:
	v_mov_b32_e32 v1, v3
	flat_store_dwordx2 v[4:5], v[0:1]
.LBB4_52:
	s_endpgm
	.section	.rodata,"a",@progbits
	.p2align	6, 0x0
	.amdhsa_kernel _ZL20rocblas_hbmvn_kernelILi64ELi16EPK19rocblas_complex_numIfEPKS3_PKPS1_EvbiiT1_T2_lllSA_lllS9_T3_llli
		.amdhsa_group_segment_fixed_size 8192
		.amdhsa_private_segment_fixed_size 0
		.amdhsa_kernarg_size 392
		.amdhsa_user_sgpr_count 2
		.amdhsa_user_sgpr_dispatch_ptr 0
		.amdhsa_user_sgpr_queue_ptr 0
		.amdhsa_user_sgpr_kernarg_segment_ptr 1
		.amdhsa_user_sgpr_dispatch_id 0
		.amdhsa_user_sgpr_kernarg_preload_length 0
		.amdhsa_user_sgpr_kernarg_preload_offset 0
		.amdhsa_user_sgpr_private_segment_size 0
		.amdhsa_uses_dynamic_stack 0
		.amdhsa_enable_private_segment 0
		.amdhsa_system_sgpr_workgroup_id_x 1
		.amdhsa_system_sgpr_workgroup_id_y 0
		.amdhsa_system_sgpr_workgroup_id_z 1
		.amdhsa_system_sgpr_workgroup_info 0
		.amdhsa_system_vgpr_workitem_id 1
		.amdhsa_next_free_vgpr 28
		.amdhsa_next_free_sgpr 52
		.amdhsa_accum_offset 28
		.amdhsa_reserve_vcc 1
		.amdhsa_float_round_mode_32 0
		.amdhsa_float_round_mode_16_64 0
		.amdhsa_float_denorm_mode_32 3
		.amdhsa_float_denorm_mode_16_64 3
		.amdhsa_dx10_clamp 1
		.amdhsa_ieee_mode 1
		.amdhsa_fp16_overflow 0
		.amdhsa_tg_split 0
		.amdhsa_exception_fp_ieee_invalid_op 0
		.amdhsa_exception_fp_denorm_src 0
		.amdhsa_exception_fp_ieee_div_zero 0
		.amdhsa_exception_fp_ieee_overflow 0
		.amdhsa_exception_fp_ieee_underflow 0
		.amdhsa_exception_fp_ieee_inexact 0
		.amdhsa_exception_int_div_zero 0
	.end_amdhsa_kernel
	.section	.text._ZL20rocblas_hbmvn_kernelILi64ELi16EPK19rocblas_complex_numIfEPKS3_PKPS1_EvbiiT1_T2_lllSA_lllS9_T3_llli,"axG",@progbits,_ZL20rocblas_hbmvn_kernelILi64ELi16EPK19rocblas_complex_numIfEPKS3_PKPS1_EvbiiT1_T2_lllSA_lllS9_T3_llli,comdat
.Lfunc_end4:
	.size	_ZL20rocblas_hbmvn_kernelILi64ELi16EPK19rocblas_complex_numIfEPKS3_PKPS1_EvbiiT1_T2_lllSA_lllS9_T3_llli, .Lfunc_end4-_ZL20rocblas_hbmvn_kernelILi64ELi16EPK19rocblas_complex_numIfEPKS3_PKPS1_EvbiiT1_T2_lllSA_lllS9_T3_llli
                                        ; -- End function
	.set _ZL20rocblas_hbmvn_kernelILi64ELi16EPK19rocblas_complex_numIfEPKS3_PKPS1_EvbiiT1_T2_lllSA_lllS9_T3_llli.num_vgpr, 28
	.set _ZL20rocblas_hbmvn_kernelILi64ELi16EPK19rocblas_complex_numIfEPKS3_PKPS1_EvbiiT1_T2_lllSA_lllS9_T3_llli.num_agpr, 0
	.set _ZL20rocblas_hbmvn_kernelILi64ELi16EPK19rocblas_complex_numIfEPKS3_PKPS1_EvbiiT1_T2_lllSA_lllS9_T3_llli.numbered_sgpr, 52
	.set _ZL20rocblas_hbmvn_kernelILi64ELi16EPK19rocblas_complex_numIfEPKS3_PKPS1_EvbiiT1_T2_lllSA_lllS9_T3_llli.num_named_barrier, 0
	.set _ZL20rocblas_hbmvn_kernelILi64ELi16EPK19rocblas_complex_numIfEPKS3_PKPS1_EvbiiT1_T2_lllSA_lllS9_T3_llli.private_seg_size, 0
	.set _ZL20rocblas_hbmvn_kernelILi64ELi16EPK19rocblas_complex_numIfEPKS3_PKPS1_EvbiiT1_T2_lllSA_lllS9_T3_llli.uses_vcc, 1
	.set _ZL20rocblas_hbmvn_kernelILi64ELi16EPK19rocblas_complex_numIfEPKS3_PKPS1_EvbiiT1_T2_lllSA_lllS9_T3_llli.uses_flat_scratch, 0
	.set _ZL20rocblas_hbmvn_kernelILi64ELi16EPK19rocblas_complex_numIfEPKS3_PKPS1_EvbiiT1_T2_lllSA_lllS9_T3_llli.has_dyn_sized_stack, 0
	.set _ZL20rocblas_hbmvn_kernelILi64ELi16EPK19rocblas_complex_numIfEPKS3_PKPS1_EvbiiT1_T2_lllSA_lllS9_T3_llli.has_recursion, 0
	.set _ZL20rocblas_hbmvn_kernelILi64ELi16EPK19rocblas_complex_numIfEPKS3_PKPS1_EvbiiT1_T2_lllSA_lllS9_T3_llli.has_indirect_call, 0
	.section	.AMDGPU.csdata,"",@progbits
; Kernel info:
; codeLenInByte = 2068
; TotalNumSgprs: 58
; NumVgprs: 28
; NumAgprs: 0
; TotalNumVgprs: 28
; ScratchSize: 0
; MemoryBound: 0
; FloatMode: 240
; IeeeMode: 1
; LDSByteSize: 8192 bytes/workgroup (compile time only)
; SGPRBlocks: 7
; VGPRBlocks: 3
; NumSGPRsForWavesPerEU: 58
; NumVGPRsForWavesPerEU: 28
; AccumOffset: 28
; Occupancy: 8
; WaveLimiterHint : 1
; COMPUTE_PGM_RSRC2:SCRATCH_EN: 0
; COMPUTE_PGM_RSRC2:USER_SGPR: 2
; COMPUTE_PGM_RSRC2:TRAP_HANDLER: 0
; COMPUTE_PGM_RSRC2:TGID_X_EN: 1
; COMPUTE_PGM_RSRC2:TGID_Y_EN: 0
; COMPUTE_PGM_RSRC2:TGID_Z_EN: 1
; COMPUTE_PGM_RSRC2:TIDIG_COMP_CNT: 1
; COMPUTE_PGM_RSRC3_GFX90A:ACCUM_OFFSET: 6
; COMPUTE_PGM_RSRC3_GFX90A:TG_SPLIT: 0
	.section	.text._ZL20rocblas_hbmvn_kernelILi64ELi16E19rocblas_complex_numIfEPKPKS1_PKPS1_EvbiiT1_T2_lllSA_lllS9_T3_llli,"axG",@progbits,_ZL20rocblas_hbmvn_kernelILi64ELi16E19rocblas_complex_numIfEPKPKS1_PKPS1_EvbiiT1_T2_lllSA_lllS9_T3_llli,comdat
	.globl	_ZL20rocblas_hbmvn_kernelILi64ELi16E19rocblas_complex_numIfEPKPKS1_PKPS1_EvbiiT1_T2_lllSA_lllS9_T3_llli ; -- Begin function _ZL20rocblas_hbmvn_kernelILi64ELi16E19rocblas_complex_numIfEPKPKS1_PKPS1_EvbiiT1_T2_lllSA_lllS9_T3_llli
	.p2align	8
	.type	_ZL20rocblas_hbmvn_kernelILi64ELi16E19rocblas_complex_numIfEPKPKS1_PKPS1_EvbiiT1_T2_lllSA_lllS9_T3_llli,@function
_ZL20rocblas_hbmvn_kernelILi64ELi16E19rocblas_complex_numIfEPKPKS1_PKPS1_EvbiiT1_T2_lllSA_lllS9_T3_llli: ; @_ZL20rocblas_hbmvn_kernelILi64ELi16E19rocblas_complex_numIfEPKPKS1_PKPS1_EvbiiT1_T2_lllSA_lllS9_T3_llli
; %bb.0:
	s_load_dwordx2 s[4:5], s[0:1], 0x94
	s_mov_b32 s8, s3
	s_waitcnt lgkmcnt(0)
	s_lshr_b32 s6, s4, 16
	s_and_b32 s3, s4, 0xffff
	s_and_b32 s5, s5, 0xffff
	s_mul_i32 s4, s6, s3
	s_mul_i32 s4, s4, s5
	s_cmpk_lg_i32 s4, 0x400
	s_cbranch_scc1 .LBB5_52
; %bb.1:
	s_load_dwordx4 s[12:15], s[0:1], 0x0
	s_load_dword s19, s[0:1], 0x10
	s_load_dwordx2 s[16:17], s[0:1], 0x58
	s_mov_b32 s9, 0
	s_waitcnt lgkmcnt(0)
	v_cmp_eq_f32_e64 s[4:5], s15, 0
	v_cmp_eq_f32_e64 s[6:7], s19, 0
	s_and_b64 s[4:5], s[4:5], s[6:7]
	v_cmp_eq_f32_e64 s[6:7], s16, 1.0
	v_cmp_eq_f32_e64 s[10:11], s17, 0
	s_and_b64 s[6:7], s[6:7], s[10:11]
	s_and_b64 s[4:5], s[4:5], s[6:7]
	s_and_b64 vcc, exec, s[4:5]
	s_cbranch_vccnz .LBB5_52
; %bb.2:
	s_load_dwordx4 s[4:7], s[0:1], 0x18
	s_load_dwordx2 s[38:39], s[0:1], 0x28
	s_or_b32 s10, s15, s19
	s_bitset0_b32 s10, 31
	s_cmp_lg_u32 s10, 0
	s_cselect_b64 s[20:21], -1, 0
	s_cmp_eq_u32 s10, 0
	s_mov_b32 s18, s15
	s_cselect_b64 s[22:23], -1, 0
	s_and_b64 vcc, exec, s[20:21]
	s_cbranch_vccnz .LBB5_4
; %bb.3:
	s_mov_b32 s27, 0
	s_mov_b32 s26, s8
	s_mov_b64 s[34:35], 0
	s_mov_b64 s[24:25], 0
	s_cbranch_execz .LBB5_5
	s_branch .LBB5_6
.LBB5_4:
	s_mov_b64 s[26:27], s[8:9]
	s_mov_b64 s[34:35], 0
	;; [unrolled: 1-line block ×3, first 2 shown]
.LBB5_5:
	s_lshl_b64 s[8:9], s[8:9], 3
	s_waitcnt lgkmcnt(0)
	s_add_u32 s4, s4, s8
	s_addc_u32 s5, s5, s9
	s_load_dwordx2 s[4:5], s[4:5], 0x0
	s_lshl_b64 s[6:7], s[6:7], 3
	s_waitcnt lgkmcnt(0)
	s_add_u32 s24, s4, s6
	s_addc_u32 s25, s5, s7
.LBB5_6:
	s_load_dwordx4 s[8:11], s[0:1], 0x38
	s_load_dwordx2 s[36:37], s[0:1], 0x48
	v_cndmask_b32_e64 v1, 0, 1, s[20:21]
	s_waitcnt lgkmcnt(0)
	v_cmp_ne_u32_e64 s[4:5], 1, v1
	s_andn2_b64 vcc, exec, s[20:21]
	s_cbranch_vccnz .LBB5_8
; %bb.7:
	s_lshl_b64 s[6:7], s[26:27], 3
	s_add_u32 s6, s8, s6
	s_addc_u32 s7, s9, s7
	s_load_dwordx2 s[6:7], s[6:7], 0x0
	s_lshl_b64 s[8:9], s[10:11], 3
	s_waitcnt lgkmcnt(0)
	s_add_u32 s34, s6, s8
	s_addc_u32 s35, s7, s9
.LBB5_8:
	s_load_dwordx4 s[8:11], s[0:1], 0x60
	s_load_dwordx2 s[20:21], s[0:1], 0x70
	s_lshl_b64 s[0:1], s[26:27], 3
	v_and_b32_e32 v1, 0x3ff, v0
	v_bfe_u32 v0, v0, 10, 10
	s_waitcnt lgkmcnt(0)
	s_add_u32 s0, s8, s0
	s_addc_u32 s1, s9, s1
	s_load_dwordx2 s[26:27], s[0:1], 0x0
	s_and_b64 vcc, exec, s[4:5]
	v_mad_u32_u24 v20, v0, s3, v1
	s_cbranch_vccnz .LBB5_40
; %bb.9:
	v_lshrrev_b32_e32 v21, 6, v20
	v_cmp_gt_i32_e32 vcc, s13, v21
	v_mov_b32_e32 v13, 0
	v_mov_b32_e32 v12, 0
	s_and_saveexec_b64 s[28:29], vcc
	s_cbranch_execz .LBB5_39
; %bb.10:
	v_and_b32_e32 v10, 63, v20
	s_lshl_b32 s3, s2, 6
	v_or_b32_e32 v0, s3, v10
	v_ashrrev_i32_e32 v1, 31, v0
	s_bitcmp1_b32 s12, 0
	v_mul_lo_u32 v4, s38, v1
	v_mul_lo_u32 v5, s39, v0
	v_mad_u64_u32 v[2:3], s[8:9], s38, v0, 0
	s_cselect_b64 s[0:1], -1, 0
	v_add3_u32 v3, v3, v4, v5
	v_mad_u64_u32 v[4:5], s[8:9], s36, v21, 0
	s_and_b64 s[4:5], s[0:1], exec
	v_mov_b32_e32 v6, v5
	s_cselect_b32 s12, s14, 0
	v_mad_u64_u32 v[6:7], s[8:9], s37, v21, v[6:7]
	v_mov_b32_e32 v5, v6
	v_sub_u32_e32 v6, s12, v10
	s_xor_b64 s[30:31], s[0:1], -1
	v_subrev_u32_e32 v22, s3, v6
	v_mad_u64_u32 v[6:7], s[8:9], s38, v21, 0
	s_cmp_eq_u32 s14, 0
	v_mov_b32_e32 v8, v7
	s_cselect_b64 s[4:5], -1, 0
	v_mad_u64_u32 v[8:9], s[8:9], s39, v21, v[8:9]
	s_or_b64 s[4:5], s[30:31], s[4:5]
	v_lshl_add_u64 v[4:5], v[4:5], 3, s[34:35]
	s_lshl_b64 s[34:35], s[36:37], 7
	s_lshl_b64 s[36:37], s[38:39], 7
	s_add_i32 s3, s14, s3
	s_lshl_b64 s[8:9], s[38:39], 3
	v_mov_b32_e32 v7, v8
	v_add_u32_e32 v8, s3, v10
	s_add_u32 s3, s8, -8
	v_lshlrev_b64 v[10:11], 3, v[0:1]
	s_addc_u32 s12, s9, -1
	v_mad_u64_u32 v[10:11], s[8:9], v21, s3, v[10:11]
	v_mov_b32_e32 v12, v11
	v_mov_b32_e32 v15, 0
	v_mad_u64_u32 v[12:13], s[8:9], v21, s12, v[12:13]
	s_add_u32 s38, s36, 0xffffff80
	v_mov_b32_e32 v14, v15
	v_cndmask_b32_e64 v9, 0, 1, s[4:5]
	v_cmp_gt_i32_e64 s[6:7], s13, v0
	v_lshl_add_u64 v[2:3], v[2:3], 3, s[24:25]
	v_lshlrev_b64 v[6:7], 3, v[6:7]
	v_sub_u32_e32 v8, v8, v21
	v_mov_b32_e32 v11, v12
	s_addc_u32 s39, s37, -1
	v_sub_u32_e32 v1, v0, v21
	s_mov_b64 s[40:41], 0
	v_cmp_ne_u32_e64 s[4:5], 1, v9
	v_mov_b64_e32 v[12:13], v[14:15]
	s_branch .LBB5_14
.LBB5_11:                               ;   in Loop: Header=BB5_14 Depth=1
	s_or_b64 exec, exec, s[8:9]
.LBB5_12:                               ;   in Loop: Header=BB5_14 Depth=1
	s_or_b64 exec, exec, s[44:45]
.LBB5_13:                               ;   in Loop: Header=BB5_14 Depth=1
	s_or_b64 exec, exec, s[42:43]
	v_add_u32_e32 v21, 16, v21
	v_cmp_le_i32_e32 vcc, s13, v21
	v_lshl_add_u64 v[4:5], v[4:5], 0, s[34:35]
	v_lshl_add_u64 v[6:7], v[6:7], 0, s[36:37]
	v_add_u32_e32 v8, -16, v8
	v_lshl_add_u64 v[10:11], v[10:11], 0, s[38:39]
	s_or_b64 s[40:41], vcc, s[40:41]
	v_add_u32_e32 v1, -16, v1
	s_andn2_b64 exec, exec, s[40:41]
	s_cbranch_execz .LBB5_38
.LBB5_14:                               ; =>This Inner Loop Header: Depth=1
	s_and_saveexec_b64 s[42:43], s[6:7]
	s_cbranch_execz .LBB5_13
; %bb.15:                               ;   in Loop: Header=BB5_14 Depth=1
	v_cmp_gt_i32_e32 vcc, v0, v21
	s_nop 1
	v_cndmask_b32_e64 v9, 0, 1, vcc
	v_cmp_lt_i32_e32 vcc, v0, v21
	s_nop 1
	v_cndmask_b32_e64 v14, 0, 1, vcc
	v_cndmask_b32_e64 v9, v14, v9, s[0:1]
	v_and_b32_e32 v9, 1, v9
	v_cmp_eq_u32_e32 vcc, 1, v9
	s_xor_b64 s[8:9], vcc, -1
	s_and_saveexec_b64 s[44:45], s[8:9]
	s_xor_b64 s[44:45], exec, s[44:45]
	s_cbranch_execz .LBB5_35
; %bb.16:                               ;   in Loop: Header=BB5_14 Depth=1
	v_add_u32_e32 v9, s14, v1
	v_cndmask_b32_e64 v14, v1, v9, s[0:1]
	v_cmp_le_i32_e32 vcc, s14, v14
	v_cmp_gt_i32_e64 s[8:9], 1, v14
	s_or_b64 s[8:9], vcc, s[8:9]
	s_and_saveexec_b64 s[46:47], s[8:9]
	s_xor_b64 s[8:9], exec, s[46:47]
	s_cbranch_execz .LBB5_32
; %bb.17:                               ;   in Loop: Header=BB5_14 Depth=1
	v_cmp_ne_u32_e32 vcc, 0, v14
	s_and_saveexec_b64 s[46:47], vcc
	s_xor_b64 s[46:47], exec, s[46:47]
	s_cbranch_execz .LBB5_25
; %bb.18:                               ;   in Loop: Header=BB5_14 Depth=1
	v_cmp_eq_u32_e32 vcc, s14, v14
	s_and_saveexec_b64 s[48:49], vcc
	s_cbranch_execz .LBB5_24
; %bb.19:                               ;   in Loop: Header=BB5_14 Depth=1
	s_mov_b64 s[50:51], -1
	s_and_b64 vcc, exec, s[30:31]
                                        ; implicit-def: $vgpr16_vgpr17
	s_cbranch_vccz .LBB5_21
; %bb.20:                               ;   in Loop: Header=BB5_14 Depth=1
	v_lshl_add_u64 v[16:17], s[24:25], 0, v[10:11]
	flat_load_dwordx2 v[18:19], v[4:5]
	flat_load_dwordx2 v[24:25], v[16:17]
	s_mov_b64 s[50:51], 0
	s_waitcnt vmcnt(0) lgkmcnt(0)
	v_pk_mul_f32 v[16:17], v[18:19], v[24:25] op_sel:[1,1] op_sel_hi:[0,1]
	v_pk_fma_f32 v[26:27], v[18:19], v[24:25], v[16:17] neg_lo:[0,0,1] neg_hi:[0,0,1]
	v_pk_fma_f32 v[16:17], v[18:19], v[24:25], v[16:17] op_sel_hi:[1,0,1]
	s_nop 0
	v_mov_b32_e32 v27, v17
	v_pk_add_f32 v[16:17], v[12:13], v[26:27]
.LBB5_21:                               ;   in Loop: Header=BB5_14 Depth=1
	s_andn2_b64 vcc, exec, s[50:51]
	s_cbranch_vccnz .LBB5_23
; %bb.22:                               ;   in Loop: Header=BB5_14 Depth=1
	v_ashrrev_i32_e32 v9, 31, v8
	v_lshl_add_u64 v[16:17], v[8:9], 3, v[6:7]
	v_lshl_add_u64 v[16:17], s[24:25], 0, v[16:17]
	flat_load_dword v14, v[16:17]
	flat_load_dwordx2 v[18:19], v[4:5]
	s_waitcnt vmcnt(0) lgkmcnt(0)
	v_pk_fma_f32 v[16:17], v[14:15], v[18:19], v[12:13] op_sel_hi:[0,1,1]
.LBB5_23:                               ;   in Loop: Header=BB5_14 Depth=1
	v_mov_b64_e32 v[12:13], v[16:17]
.LBB5_24:                               ;   in Loop: Header=BB5_14 Depth=1
	s_or_b64 exec, exec, s[48:49]
.LBB5_25:                               ;   in Loop: Header=BB5_14 Depth=1
	s_andn2_saveexec_b64 s[46:47], s[46:47]
	s_cbranch_execz .LBB5_31
; %bb.26:                               ;   in Loop: Header=BB5_14 Depth=1
	v_lshl_add_u64 v[16:17], s[24:25], 0, v[6:7]
	s_and_b64 vcc, exec, s[4:5]
	s_mov_b64 s[48:49], -1
                                        ; implicit-def: $vgpr18_vgpr19
	s_cbranch_vccnz .LBB5_28
; %bb.27:                               ;   in Loop: Header=BB5_14 Depth=1
	flat_load_dword v14, v[16:17]
	flat_load_dwordx2 v[18:19], v[4:5]
	s_mov_b64 s[48:49], 0
	s_waitcnt vmcnt(0) lgkmcnt(0)
	v_pk_fma_f32 v[18:19], v[14:15], v[18:19], v[12:13] op_sel_hi:[0,1,1]
.LBB5_28:                               ;   in Loop: Header=BB5_14 Depth=1
	s_andn2_b64 vcc, exec, s[48:49]
	s_cbranch_vccnz .LBB5_30
; %bb.29:                               ;   in Loop: Header=BB5_14 Depth=1
	flat_load_dwordx2 v[18:19], v[16:17]
	flat_load_dwordx2 v[24:25], v[4:5]
	s_waitcnt vmcnt(0) lgkmcnt(0)
	v_pk_mul_f32 v[16:17], v[24:25], v[18:19] op_sel:[1,1] op_sel_hi:[0,1]
	v_pk_fma_f32 v[26:27], v[24:25], v[18:19], v[16:17] neg_lo:[0,0,1] neg_hi:[0,0,1]
	v_pk_fma_f32 v[16:17], v[24:25], v[18:19], v[16:17] op_sel_hi:[1,0,1]
	s_nop 0
	v_mov_b32_e32 v27, v17
	v_pk_add_f32 v[18:19], v[12:13], v[26:27]
.LBB5_30:                               ;   in Loop: Header=BB5_14 Depth=1
	s_nop 0
	v_mov_b64_e32 v[12:13], v[18:19]
.LBB5_31:                               ;   in Loop: Header=BB5_14 Depth=1
	s_or_b64 exec, exec, s[46:47]
.LBB5_32:                               ;   in Loop: Header=BB5_14 Depth=1
	s_andn2_saveexec_b64 s[8:9], s[8:9]
	s_cbranch_execz .LBB5_34
; %bb.33:                               ;   in Loop: Header=BB5_14 Depth=1
	v_lshl_add_u64 v[16:17], v[14:15], 3, v[6:7]
	v_lshl_add_u64 v[16:17], s[24:25], 0, v[16:17]
	flat_load_dwordx2 v[18:19], v[4:5]
	flat_load_dwordx2 v[24:25], v[16:17]
	s_waitcnt vmcnt(0) lgkmcnt(0)
	v_pk_mul_f32 v[16:17], v[18:19], v[24:25] op_sel:[1,1] op_sel_hi:[0,1]
	v_pk_fma_f32 v[26:27], v[18:19], v[24:25], v[16:17] neg_lo:[0,0,1] neg_hi:[0,0,1]
	v_pk_fma_f32 v[16:17], v[18:19], v[24:25], v[16:17] op_sel_hi:[1,0,1]
	s_nop 0
	v_mov_b32_e32 v27, v17
	v_pk_add_f32 v[12:13], v[12:13], v[26:27]
.LBB5_34:                               ;   in Loop: Header=BB5_14 Depth=1
	s_or_b64 exec, exec, s[8:9]
.LBB5_35:                               ;   in Loop: Header=BB5_14 Depth=1
	s_andn2_saveexec_b64 s[44:45], s[44:45]
	s_cbranch_execz .LBB5_12
; %bb.36:                               ;   in Loop: Header=BB5_14 Depth=1
	v_add_u32_e32 v14, v22, v21
	v_cmp_ge_i32_e32 vcc, s14, v14
	v_cmp_lt_i32_e64 s[8:9], -1, v14
	s_and_b64 s[46:47], vcc, s[8:9]
	s_and_saveexec_b64 s[8:9], s[46:47]
	s_cbranch_execz .LBB5_11
; %bb.37:                               ;   in Loop: Header=BB5_14 Depth=1
	v_lshl_add_u64 v[16:17], v[14:15], 3, v[2:3]
	flat_load_dwordx2 v[18:19], v[4:5]
	flat_load_dwordx2 v[24:25], v[16:17]
	s_waitcnt vmcnt(0) lgkmcnt(0)
	v_pk_mul_f32 v[16:17], v[24:25], v[18:19] op_sel:[1,1] op_sel_hi:[1,0]
	s_nop 0
	v_pk_fma_f32 v[26:27], v[24:25], v[18:19], v[16:17]
	v_pk_fma_f32 v[16:17], v[24:25], v[18:19], v[16:17] op_sel_hi:[0,1,1] neg_lo:[0,0,1] neg_hi:[0,0,1]
	v_mov_b32_e32 v27, v17
	v_pk_add_f32 v[12:13], v[12:13], v[26:27]
	s_branch .LBB5_11
.LBB5_38:
	s_or_b64 exec, exec, s[40:41]
.LBB5_39:
	s_or_b64 exec, exec, s[28:29]
	v_lshlrev_b32_e32 v0, 3, v20
	ds_write_b64 v0, v[12:13]
	s_waitcnt lgkmcnt(0)
	s_barrier
.LBB5_40:
	v_cmp_gt_u32_e32 vcc, 64, v20
	s_and_saveexec_b64 s[0:1], vcc
	s_cbranch_execz .LBB5_52
; %bb.41:
	s_lshl_b64 s[0:1], s[10:11], 3
	s_waitcnt lgkmcnt(0)
	s_add_u32 s4, s26, s0
	v_lshl_or_b32 v4, s2, 6, v20
	s_addc_u32 s5, s27, s1
	s_mov_b64 s[2:3], -1
	s_and_b64 vcc, exec, s[22:23]
	v_cmp_gt_i32_e64 s[0:1], s13, v4
	s_cbranch_vccz .LBB5_47
; %bb.42:
	s_and_saveexec_b64 s[2:3], s[0:1]
	s_cbranch_execz .LBB5_46
; %bb.43:
	v_ashrrev_i32_e32 v0, 31, v4
	v_cmp_neq_f32_e64 s[0:1], s16, 0
	v_cmp_neq_f32_e64 s[6:7], s17, 0
	v_mul_lo_u32 v1, s21, v4
	v_mul_lo_u32 v0, s20, v0
	v_mad_u64_u32 v[2:3], s[8:9], s20, v4, 0
	v_add3_u32 v3, v3, v0, v1
	s_or_b64 s[0:1], s[0:1], s[6:7]
	v_mov_b32_e32 v0, 0
	s_andn2_b64 vcc, exec, s[0:1]
	v_lshl_add_u64 v[2:3], v[2:3], 3, s[4:5]
	v_mov_b32_e32 v1, 0
	s_cbranch_vccnz .LBB5_45
; %bb.44:
	flat_load_dwordx2 v[6:7], v[2:3]
	s_waitcnt vmcnt(0) lgkmcnt(0)
	v_pk_mul_f32 v[8:9], s[16:17], v[6:7] op_sel:[1,1] op_sel_hi:[0,1]
	v_pk_fma_f32 v[0:1], s[16:17], v[6:7], v[8:9] neg_lo:[0,0,1] neg_hi:[0,0,1]
	v_pk_fma_f32 v[6:7], s[16:17], v[6:7], v[8:9] op_sel_hi:[1,0,1]
	s_nop 0
	v_mov_b32_e32 v1, v7
.LBB5_45:
	flat_store_dwordx2 v[2:3], v[0:1]
.LBB5_46:
	s_or_b64 exec, exec, s[2:3]
	s_mov_b64 s[2:3], 0
.LBB5_47:
	s_andn2_b64 vcc, exec, s[2:3]
	s_cbranch_vccnz .LBB5_52
; %bb.48:
	v_lshlrev_b32_e32 v5, 3, v20
	ds_read2st64_b64 v[0:3], v5 offset1:1
	ds_read2st64_b64 v[6:9], v5 offset0:2 offset1:3
	ds_read2st64_b64 v[10:13], v5 offset0:4 offset1:5
	;; [unrolled: 1-line block ×4, first 2 shown]
	s_waitcnt lgkmcnt(0)
	v_pk_add_f32 v[0:1], v[0:1], v[2:3]
	v_cmp_gt_i32_e32 vcc, s13, v4
	v_pk_add_f32 v[0:1], v[0:1], v[6:7]
	s_nop 0
	v_pk_add_f32 v[0:1], v[0:1], v[8:9]
	s_nop 0
	;; [unrolled: 2-line block ×5, first 2 shown]
	v_pk_add_f32 v[6:7], v[0:1], v[16:17]
	ds_read2st64_b64 v[0:3], v5 offset0:10 offset1:11
	v_pk_add_f32 v[10:11], v[6:7], v[18:19]
	ds_read2st64_b64 v[6:9], v5 offset0:12 offset1:13
	;; [unrolled: 2-line block ×3, first 2 shown]
	s_waitcnt lgkmcnt(0)
	v_pk_add_f32 v[0:1], v[14:15], v[0:1]
	s_nop 0
	v_pk_add_f32 v[0:1], v[0:1], v[2:3]
	s_nop 0
	;; [unrolled: 2-line block ×5, first 2 shown]
	v_pk_add_f32 v[2:3], v[0:1], v[12:13]
	ds_write_b64 v5, v[2:3]
	s_and_b64 exec, exec, vcc
	s_cbranch_execz .LBB5_52
; %bb.49:
	v_pk_mul_f32 v[6:7], v[2:3], s[18:19] op_sel:[1,1] op_sel_hi:[1,0]
	v_cmp_neq_f32_e64 s[0:1], s16, 0
	v_pk_fma_f32 v[0:1], v[2:3], s[18:19], v[6:7] op_sel_hi:[0,1,1] neg_lo:[0,0,1] neg_hi:[0,0,1]
	v_pk_fma_f32 v[2:3], v[2:3], s[18:19], v[6:7] op_sel_hi:[0,1,1]
	v_ashrrev_i32_e32 v1, 31, v4
	v_cmp_neq_f32_e64 s[2:3], s17, 0
	v_mul_lo_u32 v2, s21, v4
	v_mul_lo_u32 v1, s20, v1
	v_mad_u64_u32 v[4:5], s[6:7], s20, v4, 0
	v_add3_u32 v5, v5, v1, v2
	s_or_b64 s[0:1], s[0:1], s[2:3]
	s_andn2_b64 vcc, exec, s[0:1]
	v_lshl_add_u64 v[4:5], v[4:5], 3, s[4:5]
	s_cbranch_vccnz .LBB5_51
; %bb.50:
	flat_load_dwordx2 v[6:7], v[4:5]
	v_mov_b32_e32 v1, v3
	s_waitcnt vmcnt(0) lgkmcnt(0)
	v_pk_mul_f32 v[2:3], s[16:17], v[6:7] op_sel:[1,1] op_sel_hi:[0,1]
	v_pk_fma_f32 v[8:9], s[16:17], v[6:7], v[2:3] neg_lo:[0,0,1] neg_hi:[0,0,1]
	v_pk_fma_f32 v[2:3], s[16:17], v[6:7], v[2:3] op_sel_hi:[1,0,1]
	s_nop 0
	v_mov_b32_e32 v9, v3
	v_pk_add_f32 v[0:1], v[0:1], v[8:9]
	s_nop 0
	v_mov_b32_e32 v3, v1
.LBB5_51:
	v_mov_b32_e32 v1, v3
	flat_store_dwordx2 v[4:5], v[0:1]
.LBB5_52:
	s_endpgm
	.section	.rodata,"a",@progbits
	.p2align	6, 0x0
	.amdhsa_kernel _ZL20rocblas_hbmvn_kernelILi64ELi16E19rocblas_complex_numIfEPKPKS1_PKPS1_EvbiiT1_T2_lllSA_lllS9_T3_llli
		.amdhsa_group_segment_fixed_size 8192
		.amdhsa_private_segment_fixed_size 0
		.amdhsa_kernarg_size 392
		.amdhsa_user_sgpr_count 2
		.amdhsa_user_sgpr_dispatch_ptr 0
		.amdhsa_user_sgpr_queue_ptr 0
		.amdhsa_user_sgpr_kernarg_segment_ptr 1
		.amdhsa_user_sgpr_dispatch_id 0
		.amdhsa_user_sgpr_kernarg_preload_length 0
		.amdhsa_user_sgpr_kernarg_preload_offset 0
		.amdhsa_user_sgpr_private_segment_size 0
		.amdhsa_uses_dynamic_stack 0
		.amdhsa_enable_private_segment 0
		.amdhsa_system_sgpr_workgroup_id_x 1
		.amdhsa_system_sgpr_workgroup_id_y 0
		.amdhsa_system_sgpr_workgroup_id_z 1
		.amdhsa_system_sgpr_workgroup_info 0
		.amdhsa_system_vgpr_workitem_id 1
		.amdhsa_next_free_vgpr 28
		.amdhsa_next_free_sgpr 52
		.amdhsa_accum_offset 28
		.amdhsa_reserve_vcc 1
		.amdhsa_float_round_mode_32 0
		.amdhsa_float_round_mode_16_64 0
		.amdhsa_float_denorm_mode_32 3
		.amdhsa_float_denorm_mode_16_64 3
		.amdhsa_dx10_clamp 1
		.amdhsa_ieee_mode 1
		.amdhsa_fp16_overflow 0
		.amdhsa_tg_split 0
		.amdhsa_exception_fp_ieee_invalid_op 0
		.amdhsa_exception_fp_denorm_src 0
		.amdhsa_exception_fp_ieee_div_zero 0
		.amdhsa_exception_fp_ieee_overflow 0
		.amdhsa_exception_fp_ieee_underflow 0
		.amdhsa_exception_fp_ieee_inexact 0
		.amdhsa_exception_int_div_zero 0
	.end_amdhsa_kernel
	.section	.text._ZL20rocblas_hbmvn_kernelILi64ELi16E19rocblas_complex_numIfEPKPKS1_PKPS1_EvbiiT1_T2_lllSA_lllS9_T3_llli,"axG",@progbits,_ZL20rocblas_hbmvn_kernelILi64ELi16E19rocblas_complex_numIfEPKPKS1_PKPS1_EvbiiT1_T2_lllSA_lllS9_T3_llli,comdat
.Lfunc_end5:
	.size	_ZL20rocblas_hbmvn_kernelILi64ELi16E19rocblas_complex_numIfEPKPKS1_PKPS1_EvbiiT1_T2_lllSA_lllS9_T3_llli, .Lfunc_end5-_ZL20rocblas_hbmvn_kernelILi64ELi16E19rocblas_complex_numIfEPKPKS1_PKPS1_EvbiiT1_T2_lllSA_lllS9_T3_llli
                                        ; -- End function
	.set _ZL20rocblas_hbmvn_kernelILi64ELi16E19rocblas_complex_numIfEPKPKS1_PKPS1_EvbiiT1_T2_lllSA_lllS9_T3_llli.num_vgpr, 28
	.set _ZL20rocblas_hbmvn_kernelILi64ELi16E19rocblas_complex_numIfEPKPKS1_PKPS1_EvbiiT1_T2_lllSA_lllS9_T3_llli.num_agpr, 0
	.set _ZL20rocblas_hbmvn_kernelILi64ELi16E19rocblas_complex_numIfEPKPKS1_PKPS1_EvbiiT1_T2_lllSA_lllS9_T3_llli.numbered_sgpr, 52
	.set _ZL20rocblas_hbmvn_kernelILi64ELi16E19rocblas_complex_numIfEPKPKS1_PKPS1_EvbiiT1_T2_lllSA_lllS9_T3_llli.num_named_barrier, 0
	.set _ZL20rocblas_hbmvn_kernelILi64ELi16E19rocblas_complex_numIfEPKPKS1_PKPS1_EvbiiT1_T2_lllSA_lllS9_T3_llli.private_seg_size, 0
	.set _ZL20rocblas_hbmvn_kernelILi64ELi16E19rocblas_complex_numIfEPKPKS1_PKPS1_EvbiiT1_T2_lllSA_lllS9_T3_llli.uses_vcc, 1
	.set _ZL20rocblas_hbmvn_kernelILi64ELi16E19rocblas_complex_numIfEPKPKS1_PKPS1_EvbiiT1_T2_lllSA_lllS9_T3_llli.uses_flat_scratch, 0
	.set _ZL20rocblas_hbmvn_kernelILi64ELi16E19rocblas_complex_numIfEPKPKS1_PKPS1_EvbiiT1_T2_lllSA_lllS9_T3_llli.has_dyn_sized_stack, 0
	.set _ZL20rocblas_hbmvn_kernelILi64ELi16E19rocblas_complex_numIfEPKPKS1_PKPS1_EvbiiT1_T2_lllSA_lllS9_T3_llli.has_recursion, 0
	.set _ZL20rocblas_hbmvn_kernelILi64ELi16E19rocblas_complex_numIfEPKPKS1_PKPS1_EvbiiT1_T2_lllSA_lllS9_T3_llli.has_indirect_call, 0
	.section	.AMDGPU.csdata,"",@progbits
; Kernel info:
; codeLenInByte = 2084
; TotalNumSgprs: 58
; NumVgprs: 28
; NumAgprs: 0
; TotalNumVgprs: 28
; ScratchSize: 0
; MemoryBound: 0
; FloatMode: 240
; IeeeMode: 1
; LDSByteSize: 8192 bytes/workgroup (compile time only)
; SGPRBlocks: 7
; VGPRBlocks: 3
; NumSGPRsForWavesPerEU: 58
; NumVGPRsForWavesPerEU: 28
; AccumOffset: 28
; Occupancy: 8
; WaveLimiterHint : 1
; COMPUTE_PGM_RSRC2:SCRATCH_EN: 0
; COMPUTE_PGM_RSRC2:USER_SGPR: 2
; COMPUTE_PGM_RSRC2:TRAP_HANDLER: 0
; COMPUTE_PGM_RSRC2:TGID_X_EN: 1
; COMPUTE_PGM_RSRC2:TGID_Y_EN: 0
; COMPUTE_PGM_RSRC2:TGID_Z_EN: 1
; COMPUTE_PGM_RSRC2:TIDIG_COMP_CNT: 1
; COMPUTE_PGM_RSRC3_GFX90A:ACCUM_OFFSET: 6
; COMPUTE_PGM_RSRC3_GFX90A:TG_SPLIT: 0
	.section	.text._ZL20rocblas_hbmvn_kernelILi64ELi16EPK19rocblas_complex_numIdEPKS3_PKPS1_EvbiiT1_T2_lllSA_lllS9_T3_llli,"axG",@progbits,_ZL20rocblas_hbmvn_kernelILi64ELi16EPK19rocblas_complex_numIdEPKS3_PKPS1_EvbiiT1_T2_lllSA_lllS9_T3_llli,comdat
	.globl	_ZL20rocblas_hbmvn_kernelILi64ELi16EPK19rocblas_complex_numIdEPKS3_PKPS1_EvbiiT1_T2_lllSA_lllS9_T3_llli ; -- Begin function _ZL20rocblas_hbmvn_kernelILi64ELi16EPK19rocblas_complex_numIdEPKS3_PKPS1_EvbiiT1_T2_lllSA_lllS9_T3_llli
	.p2align	8
	.type	_ZL20rocblas_hbmvn_kernelILi64ELi16EPK19rocblas_complex_numIdEPKS3_PKPS1_EvbiiT1_T2_lllSA_lllS9_T3_llli,@function
_ZL20rocblas_hbmvn_kernelILi64ELi16EPK19rocblas_complex_numIdEPKS3_PKPS1_EvbiiT1_T2_lllSA_lllS9_T3_llli: ; @_ZL20rocblas_hbmvn_kernelILi64ELi16EPK19rocblas_complex_numIdEPKS3_PKPS1_EvbiiT1_T2_lllSA_lllS9_T3_llli
; %bb.0:
	s_load_dwordx2 s[6:7], s[0:1], 0x94
	s_mov_b32 s4, s3
	s_waitcnt lgkmcnt(0)
	s_and_b32 s5, s7, 0xffff
	s_lshr_b32 s7, s6, 16
	s_and_b32 s3, s6, 0xffff
	s_mul_i32 s6, s7, s3
	s_mul_i32 s6, s6, s5
	s_cmpk_lg_i32 s6, 0x400
	s_cbranch_scc1 .LBB6_56
; %bb.1:
	s_load_dwordx8 s[16:23], s[0:1], 0x10
	s_load_dwordx8 s[8:15], s[0:1], 0x58
	s_mov_b32 s5, 0
	s_mov_b64 s[36:37], 0
	s_mov_b64 s[6:7], s[4:5]
	s_waitcnt lgkmcnt(0)
	s_load_dwordx4 s[28:31], s[16:17], 0x0
	s_load_dwordx4 s[24:27], s[8:9], 0x0
	s_mov_b64 s[16:17], -1
	s_waitcnt lgkmcnt(0)
	v_cmp_neq_f64_e64 s[8:9], s[28:29], 0
	v_cmp_neq_f64_e64 s[34:35], s[30:31], 0
	s_or_b64 s[34:35], s[8:9], s[34:35]
	s_and_b64 vcc, exec, s[34:35]
	s_mov_b64 s[8:9], 0
	s_cbranch_vccnz .LBB6_4
; %bb.2:
	v_cmp_eq_f64_e64 s[6:7], s[24:25], 1.0
	v_cmp_eq_f64_e64 s[8:9], s[26:27], 0
	s_and_b64 s[6:7], s[6:7], s[8:9]
	s_mov_b64 s[16:17], 0
	s_andn2_b64 vcc, exec, s[6:7]
	s_mov_b64 s[8:9], 0
                                        ; implicit-def: $sgpr6_sgpr7
	s_cbranch_vccz .LBB6_4
; %bb.3:
	s_mov_b32 s7, 0
	s_mov_b32 s6, s4
	s_mov_b64 s[8:9], -1
.LBB6_4:
	s_and_b64 vcc, exec, s[16:17]
	s_cbranch_vccz .LBB6_6
; %bb.5:
	s_lshl_b64 s[4:5], s[4:5], 3
	s_add_u32 s4, s18, s4
	s_addc_u32 s5, s19, s5
	s_load_dwordx2 s[4:5], s[4:5], 0x0
	s_lshl_b64 s[8:9], s[20:21], 4
	s_waitcnt lgkmcnt(0)
	s_add_u32 s36, s4, s8
	s_addc_u32 s37, s5, s9
	s_mov_b64 s[8:9], -1
.LBB6_6:
	s_andn2_b64 vcc, exec, s[8:9]
	s_cbranch_vccnz .LBB6_56
; %bb.7:
	s_load_dwordx4 s[16:19], s[0:1], 0x38
	s_load_dwordx2 s[8:9], s[0:1], 0x48
	v_cndmask_b32_e64 v1, 0, 1, s[34:35]
	v_cmp_ne_u32_e64 s[4:5], 1, v1
	s_andn2_b64 vcc, exec, s[34:35]
	s_mov_b64 s[40:41], 0
	s_cbranch_vccnz .LBB6_9
; %bb.8:
	s_lshl_b64 s[20:21], s[6:7], 3
	s_waitcnt lgkmcnt(0)
	s_add_u32 s16, s16, s20
	s_addc_u32 s17, s17, s21
	s_load_dwordx2 s[16:17], s[16:17], 0x0
	s_lshl_b64 s[18:19], s[18:19], 4
	s_waitcnt lgkmcnt(0)
	s_add_u32 s40, s16, s18
	s_addc_u32 s41, s17, s19
.LBB6_9:
	s_waitcnt lgkmcnt(0)
	s_load_dwordx4 s[16:19], s[0:1], 0x0
	s_lshl_b64 s[0:1], s[6:7], 3
	s_add_u32 s0, s10, s0
	s_addc_u32 s1, s11, s1
	s_load_dwordx2 s[10:11], s[0:1], 0x0
	v_and_b32_e32 v1, 0x3ff, v0
	v_bfe_u32 v0, v0, 10, 10
	s_and_b64 vcc, exec, s[4:5]
	v_mad_u32_u24 v24, v0, s3, v1
	s_cbranch_vccnz .LBB6_41
; %bb.10:
	v_lshrrev_b32_e32 v25, 6, v24
	s_waitcnt lgkmcnt(0)
	v_cmp_gt_i32_e32 vcc, s17, v25
	v_mov_b64_e32 v[2:3], 0
	v_mov_b64_e32 v[0:1], 0
	s_and_saveexec_b64 s[20:21], vcc
	s_cbranch_execz .LBB6_40
; %bb.11:
	v_and_b32_e32 v1, 63, v24
	s_lshl_b32 s3, s2, 6
	v_or_b32_e32 v4, s3, v1
	v_ashrrev_i32_e32 v5, 31, v4
	v_mul_lo_u32 v6, s22, v5
	v_mul_lo_u32 v7, s23, v4
	v_mad_u64_u32 v[2:3], s[42:43], s22, v4, 0
	v_add3_u32 v3, v3, v6, v7
	s_bitcmp1_b32 s16, 0
	v_lshl_add_u64 v[6:7], v[2:3], 4, s[36:37]
	v_mad_u64_u32 v[2:3], s[42:43], s8, v25, 0
	s_cselect_b64 s[0:1], -1, 0
	v_mov_b32_e32 v8, v3
	s_and_b64 s[4:5], s[0:1], exec
	v_mad_u64_u32 v[8:9], s[42:43], s9, v25, v[8:9]
	s_cselect_b32 s16, s18, 0
	s_xor_b64 s[38:39], s[0:1], -1
	v_mov_b32_e32 v3, v8
	s_cmp_eq_u32 s18, 0
	v_lshl_add_u64 v[8:9], v[2:3], 4, s[40:41]
	v_sub_u32_e32 v2, s16, v1
	s_cselect_b64 s[4:5], -1, 0
	s_lshl_b64 s[40:41], s[8:9], 8
	v_subrev_u32_e32 v26, s3, v2
	v_mad_u64_u32 v[2:3], s[8:9], s22, v25, 0
	v_mov_b32_e32 v10, v3
	v_mad_u64_u32 v[10:11], s[8:9], s23, v25, v[10:11]
	s_or_b64 s[4:5], s[38:39], s[4:5]
	v_mov_b32_e32 v3, v10
	s_lshl_b64 s[42:43], s[22:23], 8
	s_add_i32 s3, s18, s3
	s_lshl_b64 s[8:9], s[22:23], 4
	v_lshlrev_b64 v[10:11], 4, v[2:3]
	v_add_u32_e32 v1, s3, v1
	s_add_u32 s3, s8, -16
	v_lshlrev_b64 v[2:3], 4, v[4:5]
	s_addc_u32 s16, s9, -1
	v_mad_u64_u32 v[14:15], s[8:9], v25, s3, v[2:3]
	v_sub_u32_e32 v0, v4, v25
	v_sub_u32_e32 v12, v1, v25
	v_mov_b32_e32 v2, v15
	v_mad_u64_u32 v[2:3], s[8:9], v25, s16, v[2:3]
	s_add_u32 s22, s42, 0xffffff00
	v_cndmask_b32_e64 v5, v0, v12, s[0:1]
	v_cndmask_b32_e64 v0, 0, 1, s[4:5]
	v_cmp_gt_i32_e64 s[6:7], s17, v4
	v_mov_b32_e32 v15, v2
	s_addc_u32 s23, s43, -1
	v_mov_b32_e32 v17, 0
	v_mov_b64_e32 v[2:3], 0
	s_mov_b64 s[44:45], 0
	v_cmp_ne_u32_e64 s[4:5], 1, v0
	s_mov_b64 s[46:47], 0
	v_mov_b64_e32 v[0:1], 0
	s_branch .LBB6_15
.LBB6_12:                               ;   in Loop: Header=BB6_15 Depth=1
	s_or_b64 exec, exec, s[8:9]
.LBB6_13:                               ;   in Loop: Header=BB6_15 Depth=1
	s_or_b64 exec, exec, s[50:51]
.LBB6_14:                               ;   in Loop: Header=BB6_15 Depth=1
	s_or_b64 exec, exec, s[48:49]
	v_add_u32_e32 v25, 16, v25
	s_add_u32 s46, s46, -16
	s_addc_u32 s47, s47, -1
	v_cmp_le_i32_e32 vcc, s17, v25
	v_lshl_add_u64 v[8:9], v[8:9], 0, s[40:41]
	v_lshl_add_u64 v[10:11], v[10:11], 0, s[42:43]
	v_add_u32_e32 v12, -16, v12
	s_or_b64 s[44:45], vcc, s[44:45]
	v_lshl_add_u64 v[14:15], v[14:15], 0, s[22:23]
	s_andn2_b64 exec, exec, s[44:45]
	s_cbranch_execz .LBB6_39
.LBB6_15:                               ; =>This Inner Loop Header: Depth=1
	s_and_saveexec_b64 s[48:49], s[6:7]
	s_cbranch_execz .LBB6_14
; %bb.16:                               ;   in Loop: Header=BB6_15 Depth=1
	v_cmp_gt_i32_e32 vcc, v4, v25
	s_nop 1
	v_cndmask_b32_e64 v13, 0, 1, vcc
	v_cmp_lt_i32_e32 vcc, v4, v25
	s_nop 1
	v_cndmask_b32_e64 v16, 0, 1, vcc
	v_cndmask_b32_e64 v13, v16, v13, s[0:1]
	v_and_b32_e32 v13, 1, v13
	v_cmp_eq_u32_e32 vcc, 1, v13
	s_xor_b64 s[8:9], vcc, -1
	s_and_saveexec_b64 s[50:51], s[8:9]
	s_xor_b64 s[50:51], exec, s[50:51]
	s_cbranch_execz .LBB6_36
; %bb.17:                               ;   in Loop: Header=BB6_15 Depth=1
	v_add_u32_e32 v16, s46, v5
	v_cmp_le_i32_e32 vcc, s18, v16
	v_cmp_gt_i32_e64 s[8:9], 1, v16
	s_or_b64 s[8:9], vcc, s[8:9]
	s_and_saveexec_b64 s[52:53], s[8:9]
	s_xor_b64 s[8:9], exec, s[52:53]
	s_cbranch_execz .LBB6_33
; %bb.18:                               ;   in Loop: Header=BB6_15 Depth=1
	v_cmp_ne_u32_e32 vcc, 0, v16
	s_and_saveexec_b64 s[52:53], vcc
	s_xor_b64 s[52:53], exec, s[52:53]
	s_cbranch_execz .LBB6_26
; %bb.19:                               ;   in Loop: Header=BB6_15 Depth=1
	v_cmp_eq_u32_e32 vcc, s18, v16
	s_and_saveexec_b64 s[54:55], vcc
	s_cbranch_execz .LBB6_25
; %bb.20:                               ;   in Loop: Header=BB6_15 Depth=1
	s_mov_b64 s[56:57], -1
	s_and_b64 vcc, exec, s[38:39]
                                        ; implicit-def: $vgpr18_vgpr19
                                        ; implicit-def: $vgpr20_vgpr21
	s_cbranch_vccz .LBB6_22
; %bb.21:                               ;   in Loop: Header=BB6_15 Depth=1
	v_lshl_add_u64 v[22:23], s[36:37], 0, v[14:15]
	flat_load_dwordx4 v[18:21], v[8:9]
	flat_load_dwordx4 v[28:31], v[22:23]
	s_mov_b64 s[56:57], 0
	s_waitcnt vmcnt(0) lgkmcnt(0)
	v_mul_f64 v[22:23], v[20:21], v[30:31]
	v_mul_f64 v[30:31], v[18:19], v[30:31]
	v_fma_f64 v[18:19], v[18:19], v[28:29], -v[22:23]
	v_fmac_f64_e32 v[30:31], v[20:21], v[28:29]
	v_add_f64 v[20:21], v[0:1], v[18:19]
	v_add_f64 v[18:19], v[2:3], v[30:31]
.LBB6_22:                               ;   in Loop: Header=BB6_15 Depth=1
	s_andn2_b64 vcc, exec, s[56:57]
	s_cbranch_vccnz .LBB6_24
; %bb.23:                               ;   in Loop: Header=BB6_15 Depth=1
	v_ashrrev_i32_e32 v13, 31, v12
	v_lshl_add_u64 v[18:19], v[12:13], 4, v[10:11]
	v_lshl_add_u64 v[22:23], s[36:37], 0, v[18:19]
	flat_load_dwordx4 v[18:21], v[8:9]
	s_nop 0
	flat_load_dwordx2 v[22:23], v[22:23]
	s_waitcnt vmcnt(0) lgkmcnt(0)
	v_fmac_f64_e32 v[0:1], v[22:23], v[18:19]
	v_fmac_f64_e32 v[2:3], v[22:23], v[20:21]
	v_mov_b64_e32 v[18:19], v[2:3]
	v_mov_b64_e32 v[20:21], v[0:1]
.LBB6_24:                               ;   in Loop: Header=BB6_15 Depth=1
	v_mov_b64_e32 v[2:3], v[18:19]
	v_mov_b64_e32 v[0:1], v[20:21]
.LBB6_25:                               ;   in Loop: Header=BB6_15 Depth=1
	s_or_b64 exec, exec, s[54:55]
.LBB6_26:                               ;   in Loop: Header=BB6_15 Depth=1
	s_andn2_saveexec_b64 s[52:53], s[52:53]
	s_cbranch_execz .LBB6_32
; %bb.27:                               ;   in Loop: Header=BB6_15 Depth=1
	v_lshl_add_u64 v[18:19], s[36:37], 0, v[10:11]
	s_and_b64 vcc, exec, s[4:5]
	s_mov_b64 s[54:55], -1
                                        ; implicit-def: $vgpr22_vgpr23
                                        ; implicit-def: $vgpr20_vgpr21
	s_cbranch_vccnz .LBB6_29
; %bb.28:                               ;   in Loop: Header=BB6_15 Depth=1
	flat_load_dwordx2 v[28:29], v[18:19]
	flat_load_dwordx4 v[20:23], v[8:9]
	s_mov_b64 s[54:55], 0
	s_waitcnt vmcnt(0) lgkmcnt(0)
	v_fma_f64 v[20:21], v[28:29], v[20:21], v[0:1]
	v_fma_f64 v[22:23], v[28:29], v[22:23], v[2:3]
.LBB6_29:                               ;   in Loop: Header=BB6_15 Depth=1
	s_andn2_b64 vcc, exec, s[54:55]
	s_cbranch_vccnz .LBB6_31
; %bb.30:                               ;   in Loop: Header=BB6_15 Depth=1
	flat_load_dwordx4 v[20:23], v[8:9]
	flat_load_dwordx4 v[28:31], v[18:19]
	s_waitcnt vmcnt(0) lgkmcnt(0)
	v_mul_f64 v[18:19], v[22:23], v[30:31]
	v_mul_f64 v[30:31], v[20:21], v[30:31]
	v_fma_f64 v[18:19], v[20:21], v[28:29], -v[18:19]
	v_fmac_f64_e32 v[30:31], v[22:23], v[28:29]
	v_add_f64 v[20:21], v[0:1], v[18:19]
	v_add_f64 v[22:23], v[2:3], v[30:31]
.LBB6_31:                               ;   in Loop: Header=BB6_15 Depth=1
	v_mov_b64_e32 v[2:3], v[22:23]
	v_mov_b64_e32 v[0:1], v[20:21]
.LBB6_32:                               ;   in Loop: Header=BB6_15 Depth=1
	s_or_b64 exec, exec, s[52:53]
.LBB6_33:                               ;   in Loop: Header=BB6_15 Depth=1
	s_andn2_saveexec_b64 s[8:9], s[8:9]
	s_cbranch_execz .LBB6_35
; %bb.34:                               ;   in Loop: Header=BB6_15 Depth=1
	v_lshl_add_u64 v[18:19], v[16:17], 4, v[10:11]
	v_lshl_add_u64 v[22:23], s[36:37], 0, v[18:19]
	flat_load_dwordx4 v[18:21], v[8:9]
	flat_load_dwordx4 v[28:31], v[22:23]
	s_waitcnt vmcnt(0) lgkmcnt(0)
	v_mul_f64 v[22:23], v[20:21], v[30:31]
	v_mul_f64 v[30:31], v[18:19], v[30:31]
	v_fma_f64 v[18:19], v[18:19], v[28:29], -v[22:23]
	v_fmac_f64_e32 v[30:31], v[20:21], v[28:29]
	v_add_f64 v[0:1], v[0:1], v[18:19]
	v_add_f64 v[2:3], v[2:3], v[30:31]
.LBB6_35:                               ;   in Loop: Header=BB6_15 Depth=1
	s_or_b64 exec, exec, s[8:9]
.LBB6_36:                               ;   in Loop: Header=BB6_15 Depth=1
	s_andn2_saveexec_b64 s[50:51], s[50:51]
	s_cbranch_execz .LBB6_13
; %bb.37:                               ;   in Loop: Header=BB6_15 Depth=1
	v_add_u32_e32 v16, v26, v25
	v_cmp_ge_i32_e32 vcc, s18, v16
	v_cmp_lt_i32_e64 s[8:9], -1, v16
	s_and_b64 s[52:53], vcc, s[8:9]
	s_and_saveexec_b64 s[8:9], s[52:53]
	s_cbranch_execz .LBB6_12
; %bb.38:                               ;   in Loop: Header=BB6_15 Depth=1
	v_lshl_add_u64 v[22:23], v[16:17], 4, v[6:7]
	flat_load_dwordx4 v[18:21], v[8:9]
	flat_load_dwordx4 v[28:31], v[22:23]
	s_waitcnt vmcnt(0) lgkmcnt(0)
	v_mul_f64 v[22:23], v[30:31], v[20:21]
	v_mul_f64 v[30:31], v[30:31], v[18:19]
	v_fmac_f64_e32 v[22:23], v[28:29], v[18:19]
	v_fma_f64 v[18:19], v[28:29], v[20:21], -v[30:31]
	v_add_f64 v[0:1], v[0:1], v[22:23]
	v_add_f64 v[2:3], v[2:3], v[18:19]
	s_branch .LBB6_12
.LBB6_39:
	s_or_b64 exec, exec, s[44:45]
.LBB6_40:
	s_or_b64 exec, exec, s[20:21]
	v_lshlrev_b32_e32 v4, 4, v24
	ds_write_b128 v4, v[0:3]
	s_waitcnt lgkmcnt(0)
	s_barrier
.LBB6_41:
	v_cmp_gt_u32_e32 vcc, 64, v24
	s_and_saveexec_b64 s[0:1], vcc
	s_cbranch_execz .LBB6_56
; %bb.42:
	s_xor_b64 s[0:1], s[34:35], -1
	s_lshl_b64 s[4:5], s[12:13], 4
	s_waitcnt lgkmcnt(0)
	s_add_u32 s4, s10, s4
	v_lshl_or_b32 v10, s2, 6, v24
	s_addc_u32 s5, s11, s5
	s_and_b64 vcc, exec, s[0:1]
	v_cmp_gt_i32_e64 s[0:1], s17, v10
	s_cbranch_vccz .LBB6_48
; %bb.43:
	s_mov_b64 s[6:7], 0
	s_mov_b64 s[2:3], 0
                                        ; implicit-def: $vgpr2_vgpr3
                                        ; implicit-def: $vgpr8_vgpr9
	s_and_saveexec_b64 s[8:9], s[0:1]
	s_xor_b64 s[0:1], exec, s[8:9]
	s_cbranch_execz .LBB6_47
; %bb.44:
	v_cmp_neq_f64_e64 s[2:3], s[24:25], 0
	v_cmp_neq_f64_e64 s[8:9], s[26:27], 0
	v_ashrrev_i32_e32 v0, 31, v10
	v_mul_lo_u32 v1, s15, v10
	v_mul_lo_u32 v0, s14, v0
	v_mad_u64_u32 v[8:9], s[10:11], s14, v10, 0
	s_or_b64 s[2:3], s[2:3], s[8:9]
	v_mov_b64_e32 v[2:3], 0
	v_add3_u32 v9, v9, v0, v1
	s_andn2_b64 vcc, exec, s[2:3]
	v_mov_b64_e32 v[0:1], 0
	s_cbranch_vccnz .LBB6_46
; %bb.45:
	v_lshl_add_u64 v[0:1], v[8:9], 4, s[4:5]
	flat_load_dwordx4 v[4:7], v[0:1]
	s_waitcnt vmcnt(0) lgkmcnt(0)
	v_mul_f64 v[0:1], s[26:27], v[6:7]
	v_mul_f64 v[2:3], s[24:25], v[6:7]
	v_fma_f64 v[0:1], s[24:25], v[4:5], -v[0:1]
	v_fmac_f64_e32 v[2:3], s[26:27], v[4:5]
.LBB6_46:
	s_mov_b64 s[2:3], exec
.LBB6_47:
	s_or_b64 exec, exec, s[0:1]
	s_and_b64 vcc, exec, s[6:7]
	s_cbranch_vccnz .LBB6_49
	s_branch .LBB6_54
.LBB6_48:
	s_mov_b64 s[2:3], 0
                                        ; implicit-def: $vgpr2_vgpr3
                                        ; implicit-def: $vgpr8_vgpr9
	s_cbranch_execz .LBB6_54
.LBB6_49:
	v_lshlrev_b32_e32 v11, 4, v24
	ds_read_b128 v[0:3], v11
	ds_read_b128 v[4:7], v11 offset:1024
	ds_read_b128 v[12:15], v11 offset:2048
	ds_read_b128 v[16:19], v11 offset:3072
	v_cmp_gt_i32_e32 vcc, s17, v10
	s_waitcnt lgkmcnt(2)
	v_add_f64 v[0:1], v[0:1], v[4:5]
	v_add_f64 v[4:5], v[2:3], v[6:7]
	s_waitcnt lgkmcnt(1)
	v_add_f64 v[6:7], v[0:1], v[12:13]
	ds_read_b128 v[0:3], v11 offset:4096
	v_add_f64 v[8:9], v[4:5], v[14:15]
	s_waitcnt lgkmcnt(1)
	v_add_f64 v[12:13], v[6:7], v[16:17]
	ds_read_b128 v[4:7], v11 offset:5120
	;; [unrolled: 4-line block ×9, first 2 shown]
	v_add_f64 v[2:3], v[8:9], v[2:3]
	s_waitcnt lgkmcnt(1)
	v_add_f64 v[4:5], v[0:1], v[4:5]
	v_add_f64 v[8:9], v[2:3], v[6:7]
	ds_read_b128 v[0:3], v11 offset:13312
	s_waitcnt lgkmcnt(1)
	v_add_f64 v[16:17], v[4:5], v[12:13]
	ds_read_b128 v[4:7], v11 offset:14336
	v_add_f64 v[8:9], v[8:9], v[14:15]
	ds_read_b128 v[12:15], v11 offset:15360
	s_waitcnt lgkmcnt(2)
	v_add_f64 v[0:1], v[16:17], v[0:1]
	v_add_f64 v[2:3], v[8:9], v[2:3]
	s_waitcnt lgkmcnt(1)
	v_add_f64 v[0:1], v[0:1], v[4:5]
	v_add_f64 v[2:3], v[2:3], v[6:7]
	;; [unrolled: 3-line block ×3, first 2 shown]
	ds_write_b128 v11, v[4:7]
                                        ; implicit-def: $vgpr2_vgpr3
                                        ; implicit-def: $vgpr8_vgpr9
	s_and_saveexec_b64 s[0:1], vcc
	s_cbranch_execz .LBB6_53
; %bb.50:
	v_mul_f64 v[0:1], s[30:31], v[6:7]
	v_mul_f64 v[2:3], s[28:29], v[6:7]
	v_cmp_neq_f64_e64 s[6:7], s[24:25], 0
	v_cmp_neq_f64_e64 s[8:9], s[26:27], 0
	v_fma_f64 v[0:1], s[28:29], v[4:5], -v[0:1]
	v_fmac_f64_e32 v[2:3], s[30:31], v[4:5]
	v_ashrrev_i32_e32 v4, 31, v10
	v_mul_lo_u32 v5, s15, v10
	v_mul_lo_u32 v4, s14, v4
	v_mad_u64_u32 v[8:9], s[10:11], s14, v10, 0
	s_or_b64 s[6:7], s[6:7], s[8:9]
	s_andn2_b64 vcc, exec, s[6:7]
	v_add3_u32 v9, v9, v4, v5
	s_cbranch_vccnz .LBB6_52
; %bb.51:
	v_lshl_add_u64 v[4:5], v[8:9], 4, s[4:5]
	flat_load_dwordx4 v[4:7], v[4:5]
	s_waitcnt vmcnt(0) lgkmcnt(0)
	v_mul_f64 v[10:11], s[26:27], v[6:7]
	v_mul_f64 v[6:7], s[24:25], v[6:7]
	v_fma_f64 v[10:11], s[24:25], v[4:5], -v[10:11]
	v_fmac_f64_e32 v[6:7], s[26:27], v[4:5]
	v_add_f64 v[0:1], v[0:1], v[10:11]
	v_add_f64 v[2:3], v[2:3], v[6:7]
.LBB6_52:
	s_or_b64 s[2:3], s[2:3], exec
.LBB6_53:
	s_or_b64 exec, exec, s[0:1]
.LBB6_54:
	s_and_b64 exec, exec, s[2:3]
	s_cbranch_execz .LBB6_56
; %bb.55:
	v_lshl_add_u64 v[4:5], v[8:9], 4, s[4:5]
	flat_store_dwordx4 v[4:5], v[0:3]
.LBB6_56:
	s_endpgm
	.section	.rodata,"a",@progbits
	.p2align	6, 0x0
	.amdhsa_kernel _ZL20rocblas_hbmvn_kernelILi64ELi16EPK19rocblas_complex_numIdEPKS3_PKPS1_EvbiiT1_T2_lllSA_lllS9_T3_llli
		.amdhsa_group_segment_fixed_size 16384
		.amdhsa_private_segment_fixed_size 0
		.amdhsa_kernarg_size 392
		.amdhsa_user_sgpr_count 2
		.amdhsa_user_sgpr_dispatch_ptr 0
		.amdhsa_user_sgpr_queue_ptr 0
		.amdhsa_user_sgpr_kernarg_segment_ptr 1
		.amdhsa_user_sgpr_dispatch_id 0
		.amdhsa_user_sgpr_kernarg_preload_length 0
		.amdhsa_user_sgpr_kernarg_preload_offset 0
		.amdhsa_user_sgpr_private_segment_size 0
		.amdhsa_uses_dynamic_stack 0
		.amdhsa_enable_private_segment 0
		.amdhsa_system_sgpr_workgroup_id_x 1
		.amdhsa_system_sgpr_workgroup_id_y 0
		.amdhsa_system_sgpr_workgroup_id_z 1
		.amdhsa_system_sgpr_workgroup_info 0
		.amdhsa_system_vgpr_workitem_id 1
		.amdhsa_next_free_vgpr 32
		.amdhsa_next_free_sgpr 58
		.amdhsa_accum_offset 32
		.amdhsa_reserve_vcc 1
		.amdhsa_float_round_mode_32 0
		.amdhsa_float_round_mode_16_64 0
		.amdhsa_float_denorm_mode_32 3
		.amdhsa_float_denorm_mode_16_64 3
		.amdhsa_dx10_clamp 1
		.amdhsa_ieee_mode 1
		.amdhsa_fp16_overflow 0
		.amdhsa_tg_split 0
		.amdhsa_exception_fp_ieee_invalid_op 0
		.amdhsa_exception_fp_denorm_src 0
		.amdhsa_exception_fp_ieee_div_zero 0
		.amdhsa_exception_fp_ieee_overflow 0
		.amdhsa_exception_fp_ieee_underflow 0
		.amdhsa_exception_fp_ieee_inexact 0
		.amdhsa_exception_int_div_zero 0
	.end_amdhsa_kernel
	.section	.text._ZL20rocblas_hbmvn_kernelILi64ELi16EPK19rocblas_complex_numIdEPKS3_PKPS1_EvbiiT1_T2_lllSA_lllS9_T3_llli,"axG",@progbits,_ZL20rocblas_hbmvn_kernelILi64ELi16EPK19rocblas_complex_numIdEPKS3_PKPS1_EvbiiT1_T2_lllSA_lllS9_T3_llli,comdat
.Lfunc_end6:
	.size	_ZL20rocblas_hbmvn_kernelILi64ELi16EPK19rocblas_complex_numIdEPKS3_PKPS1_EvbiiT1_T2_lllSA_lllS9_T3_llli, .Lfunc_end6-_ZL20rocblas_hbmvn_kernelILi64ELi16EPK19rocblas_complex_numIdEPKS3_PKPS1_EvbiiT1_T2_lllSA_lllS9_T3_llli
                                        ; -- End function
	.set _ZL20rocblas_hbmvn_kernelILi64ELi16EPK19rocblas_complex_numIdEPKS3_PKPS1_EvbiiT1_T2_lllSA_lllS9_T3_llli.num_vgpr, 32
	.set _ZL20rocblas_hbmvn_kernelILi64ELi16EPK19rocblas_complex_numIdEPKS3_PKPS1_EvbiiT1_T2_lllSA_lllS9_T3_llli.num_agpr, 0
	.set _ZL20rocblas_hbmvn_kernelILi64ELi16EPK19rocblas_complex_numIdEPKS3_PKPS1_EvbiiT1_T2_lllSA_lllS9_T3_llli.numbered_sgpr, 58
	.set _ZL20rocblas_hbmvn_kernelILi64ELi16EPK19rocblas_complex_numIdEPKS3_PKPS1_EvbiiT1_T2_lllSA_lllS9_T3_llli.num_named_barrier, 0
	.set _ZL20rocblas_hbmvn_kernelILi64ELi16EPK19rocblas_complex_numIdEPKS3_PKPS1_EvbiiT1_T2_lllSA_lllS9_T3_llli.private_seg_size, 0
	.set _ZL20rocblas_hbmvn_kernelILi64ELi16EPK19rocblas_complex_numIdEPKS3_PKPS1_EvbiiT1_T2_lllSA_lllS9_T3_llli.uses_vcc, 1
	.set _ZL20rocblas_hbmvn_kernelILi64ELi16EPK19rocblas_complex_numIdEPKS3_PKPS1_EvbiiT1_T2_lllSA_lllS9_T3_llli.uses_flat_scratch, 0
	.set _ZL20rocblas_hbmvn_kernelILi64ELi16EPK19rocblas_complex_numIdEPKS3_PKPS1_EvbiiT1_T2_lllSA_lllS9_T3_llli.has_dyn_sized_stack, 0
	.set _ZL20rocblas_hbmvn_kernelILi64ELi16EPK19rocblas_complex_numIdEPKS3_PKPS1_EvbiiT1_T2_lllSA_lllS9_T3_llli.has_recursion, 0
	.set _ZL20rocblas_hbmvn_kernelILi64ELi16EPK19rocblas_complex_numIdEPKS3_PKPS1_EvbiiT1_T2_lllSA_lllS9_T3_llli.has_indirect_call, 0
	.section	.AMDGPU.csdata,"",@progbits
; Kernel info:
; codeLenInByte = 2336
; TotalNumSgprs: 64
; NumVgprs: 32
; NumAgprs: 0
; TotalNumVgprs: 32
; ScratchSize: 0
; MemoryBound: 1
; FloatMode: 240
; IeeeMode: 1
; LDSByteSize: 16384 bytes/workgroup (compile time only)
; SGPRBlocks: 7
; VGPRBlocks: 3
; NumSGPRsForWavesPerEU: 64
; NumVGPRsForWavesPerEU: 32
; AccumOffset: 32
; Occupancy: 8
; WaveLimiterHint : 1
; COMPUTE_PGM_RSRC2:SCRATCH_EN: 0
; COMPUTE_PGM_RSRC2:USER_SGPR: 2
; COMPUTE_PGM_RSRC2:TRAP_HANDLER: 0
; COMPUTE_PGM_RSRC2:TGID_X_EN: 1
; COMPUTE_PGM_RSRC2:TGID_Y_EN: 0
; COMPUTE_PGM_RSRC2:TGID_Z_EN: 1
; COMPUTE_PGM_RSRC2:TIDIG_COMP_CNT: 1
; COMPUTE_PGM_RSRC3_GFX90A:ACCUM_OFFSET: 7
; COMPUTE_PGM_RSRC3_GFX90A:TG_SPLIT: 0
	.section	.text._ZL20rocblas_hbmvn_kernelILi64ELi16E19rocblas_complex_numIdEPKPKS1_PKPS1_EvbiiT1_T2_lllSA_lllS9_T3_llli,"axG",@progbits,_ZL20rocblas_hbmvn_kernelILi64ELi16E19rocblas_complex_numIdEPKPKS1_PKPS1_EvbiiT1_T2_lllSA_lllS9_T3_llli,comdat
	.globl	_ZL20rocblas_hbmvn_kernelILi64ELi16E19rocblas_complex_numIdEPKPKS1_PKPS1_EvbiiT1_T2_lllSA_lllS9_T3_llli ; -- Begin function _ZL20rocblas_hbmvn_kernelILi64ELi16E19rocblas_complex_numIdEPKPKS1_PKPS1_EvbiiT1_T2_lllSA_lllS9_T3_llli
	.p2align	8
	.type	_ZL20rocblas_hbmvn_kernelILi64ELi16E19rocblas_complex_numIdEPKPKS1_PKPS1_EvbiiT1_T2_lllSA_lllS9_T3_llli,@function
_ZL20rocblas_hbmvn_kernelILi64ELi16E19rocblas_complex_numIdEPKPKS1_PKPS1_EvbiiT1_T2_lllSA_lllS9_T3_llli: ; @_ZL20rocblas_hbmvn_kernelILi64ELi16E19rocblas_complex_numIdEPKPKS1_PKPS1_EvbiiT1_T2_lllSA_lllS9_T3_llli
; %bb.0:
	s_load_dwordx2 s[6:7], s[0:1], 0xa4
	s_mov_b32 s4, s3
	s_waitcnt lgkmcnt(0)
	s_and_b32 s5, s7, 0xffff
	s_lshr_b32 s7, s6, 16
	s_and_b32 s3, s6, 0xffff
	s_mul_i32 s6, s7, s3
	s_mul_i32 s6, s6, s5
	s_cmpk_lg_i32 s6, 0x400
	s_cbranch_scc1 .LBB7_56
; %bb.1:
	s_load_dwordx8 s[20:27], s[0:1], 0x10
	s_load_dwordx2 s[42:43], s[0:1], 0x30
	s_load_dwordx8 s[12:19], s[0:1], 0x60
	s_mov_b32 s5, 0
	s_mov_b64 s[34:35], 0
	s_waitcnt lgkmcnt(0)
	v_cmp_neq_f64_e64 s[6:7], s[20:21], 0
	v_cmp_neq_f64_e64 s[8:9], s[22:23], 0
	s_or_b64 s[30:31], s[6:7], s[8:9]
	s_mov_b64 s[8:9], -1
	s_and_b64 vcc, exec, s[30:31]
	s_mov_b64 s[6:7], s[4:5]
	s_mov_b64 s[10:11], 0
	s_cbranch_vccnz .LBB7_4
; %bb.2:
	v_cmp_eq_f64_e64 s[6:7], s[12:13], 1.0
	v_cmp_eq_f64_e64 s[10:11], s[14:15], 0
	s_and_b64 s[6:7], s[6:7], s[10:11]
	s_mov_b64 s[8:9], 0
	s_andn2_b64 vcc, exec, s[6:7]
	s_mov_b64 s[10:11], 0
                                        ; implicit-def: $sgpr6_sgpr7
	s_cbranch_vccz .LBB7_4
; %bb.3:
	s_mov_b32 s7, 0
	s_mov_b32 s6, s4
	s_mov_b64 s[10:11], -1
.LBB7_4:
	s_and_b64 vcc, exec, s[8:9]
	s_cbranch_vccz .LBB7_6
; %bb.5:
	s_lshl_b64 s[4:5], s[4:5], 3
	s_add_u32 s4, s24, s4
	s_addc_u32 s5, s25, s5
	s_load_dwordx2 s[4:5], s[4:5], 0x0
	s_lshl_b64 s[8:9], s[26:27], 4
	s_mov_b64 s[10:11], -1
	s_waitcnt lgkmcnt(0)
	s_add_u32 s34, s4, s8
	s_addc_u32 s35, s5, s9
.LBB7_6:
	s_andn2_b64 vcc, exec, s[10:11]
	s_cbranch_vccnz .LBB7_56
; %bb.7:
	s_load_dwordx2 s[28:29], s[0:1], 0x80
	s_load_dwordx4 s[8:11], s[0:1], 0x40
	s_load_dwordx2 s[38:39], s[0:1], 0x50
	v_cndmask_b32_e64 v1, 0, 1, s[30:31]
	v_cmp_ne_u32_e64 s[4:5], 1, v1
	s_andn2_b64 vcc, exec, s[30:31]
	s_mov_b64 s[40:41], 0
	s_cbranch_vccnz .LBB7_9
; %bb.8:
	s_lshl_b64 s[24:25], s[6:7], 3
	s_waitcnt lgkmcnt(0)
	s_add_u32 s8, s8, s24
	s_addc_u32 s9, s9, s25
	s_load_dwordx2 s[8:9], s[8:9], 0x0
	s_lshl_b64 s[10:11], s[10:11], 4
	s_waitcnt lgkmcnt(0)
	s_add_u32 s40, s8, s10
	s_addc_u32 s41, s9, s11
.LBB7_9:
	s_load_dwordx4 s[24:27], s[0:1], 0x0
	s_lshl_b64 s[0:1], s[6:7], 3
	s_add_u32 s0, s16, s0
	s_addc_u32 s1, s17, s1
	s_waitcnt lgkmcnt(0)
	s_load_dwordx2 s[10:11], s[0:1], 0x0
	v_and_b32_e32 v1, 0x3ff, v0
	v_bfe_u32 v0, v0, 10, 10
	s_and_b64 vcc, exec, s[4:5]
	v_mad_u32_u24 v24, v0, s3, v1
	s_cbranch_vccnz .LBB7_41
; %bb.10:
	v_lshrrev_b32_e32 v25, 6, v24
	v_cmp_gt_i32_e32 vcc, s25, v25
	v_mov_b64_e32 v[2:3], 0
	v_mov_b64_e32 v[0:1], 0
	s_and_saveexec_b64 s[16:17], vcc
	s_cbranch_execz .LBB7_40
; %bb.11:
	v_and_b32_e32 v1, 63, v24
	s_lshl_b32 s3, s2, 6
	v_or_b32_e32 v4, s3, v1
	v_ashrrev_i32_e32 v5, 31, v4
	v_mul_lo_u32 v6, s42, v5
	v_mul_lo_u32 v7, s43, v4
	v_mad_u64_u32 v[2:3], s[8:9], s42, v4, 0
	v_add3_u32 v3, v3, v6, v7
	s_bitcmp1_b32 s24, 0
	v_lshl_add_u64 v[6:7], v[2:3], 4, s[34:35]
	v_mad_u64_u32 v[2:3], s[8:9], s38, v25, 0
	s_cselect_b64 s[0:1], -1, 0
	v_mov_b32_e32 v8, v3
	s_and_b64 s[4:5], s[0:1], exec
	v_mad_u64_u32 v[8:9], s[8:9], s39, v25, v[8:9]
	s_cselect_b32 s24, s26, 0
	v_mov_b32_e32 v3, v8
	v_lshl_add_u64 v[8:9], v[2:3], 4, s[40:41]
	v_sub_u32_e32 v2, s24, v1
	s_xor_b64 s[36:37], s[0:1], -1
	v_subrev_u32_e32 v26, s3, v2
	v_mad_u64_u32 v[2:3], s[8:9], s42, v25, 0
	s_cmp_eq_u32 s26, 0
	v_mov_b32_e32 v10, v3
	s_cselect_b64 s[4:5], -1, 0
	v_mad_u64_u32 v[10:11], s[8:9], s43, v25, v[10:11]
	s_or_b64 s[4:5], s[36:37], s[4:5]
	s_lshl_b64 s[38:39], s[38:39], 8
	v_mov_b32_e32 v3, v10
	s_lshl_b64 s[40:41], s[42:43], 8
	s_add_i32 s3, s26, s3
	s_lshl_b64 s[8:9], s[42:43], 4
	v_lshlrev_b64 v[10:11], 4, v[2:3]
	v_add_u32_e32 v1, s3, v1
	s_add_u32 s3, s8, -16
	v_lshlrev_b64 v[2:3], 4, v[4:5]
	s_addc_u32 s24, s9, -1
	v_mad_u64_u32 v[14:15], s[8:9], v25, s3, v[2:3]
	v_sub_u32_e32 v0, v4, v25
	v_sub_u32_e32 v12, v1, v25
	v_mov_b32_e32 v2, v15
	v_mad_u64_u32 v[2:3], s[8:9], v25, s24, v[2:3]
	s_add_u32 s42, s40, 0xffffff00
	v_cndmask_b32_e64 v5, v0, v12, s[0:1]
	v_cndmask_b32_e64 v0, 0, 1, s[4:5]
	v_cmp_gt_i32_e64 s[6:7], s25, v4
	v_mov_b32_e32 v15, v2
	s_addc_u32 s43, s41, -1
	v_mov_b32_e32 v17, 0
	v_mov_b64_e32 v[2:3], 0
	s_mov_b64 s[44:45], 0
	v_cmp_ne_u32_e64 s[4:5], 1, v0
	s_mov_b64 s[46:47], 0
	v_mov_b64_e32 v[0:1], 0
	s_branch .LBB7_15
.LBB7_12:                               ;   in Loop: Header=BB7_15 Depth=1
	s_or_b64 exec, exec, s[8:9]
.LBB7_13:                               ;   in Loop: Header=BB7_15 Depth=1
	s_or_b64 exec, exec, s[50:51]
.LBB7_14:                               ;   in Loop: Header=BB7_15 Depth=1
	s_or_b64 exec, exec, s[48:49]
	v_add_u32_e32 v25, 16, v25
	s_add_u32 s46, s46, -16
	s_addc_u32 s47, s47, -1
	v_cmp_le_i32_e32 vcc, s25, v25
	v_lshl_add_u64 v[8:9], v[8:9], 0, s[38:39]
	v_lshl_add_u64 v[10:11], v[10:11], 0, s[40:41]
	v_add_u32_e32 v12, -16, v12
	s_or_b64 s[44:45], vcc, s[44:45]
	v_lshl_add_u64 v[14:15], v[14:15], 0, s[42:43]
	s_andn2_b64 exec, exec, s[44:45]
	s_cbranch_execz .LBB7_39
.LBB7_15:                               ; =>This Inner Loop Header: Depth=1
	s_and_saveexec_b64 s[48:49], s[6:7]
	s_cbranch_execz .LBB7_14
; %bb.16:                               ;   in Loop: Header=BB7_15 Depth=1
	v_cmp_gt_i32_e32 vcc, v4, v25
	s_nop 1
	v_cndmask_b32_e64 v13, 0, 1, vcc
	v_cmp_lt_i32_e32 vcc, v4, v25
	s_nop 1
	v_cndmask_b32_e64 v16, 0, 1, vcc
	v_cndmask_b32_e64 v13, v16, v13, s[0:1]
	v_and_b32_e32 v13, 1, v13
	v_cmp_eq_u32_e32 vcc, 1, v13
	s_xor_b64 s[8:9], vcc, -1
	s_and_saveexec_b64 s[50:51], s[8:9]
	s_xor_b64 s[50:51], exec, s[50:51]
	s_cbranch_execz .LBB7_36
; %bb.17:                               ;   in Loop: Header=BB7_15 Depth=1
	v_add_u32_e32 v16, s46, v5
	v_cmp_le_i32_e32 vcc, s26, v16
	v_cmp_gt_i32_e64 s[8:9], 1, v16
	s_or_b64 s[8:9], vcc, s[8:9]
	s_and_saveexec_b64 s[52:53], s[8:9]
	s_xor_b64 s[8:9], exec, s[52:53]
	s_cbranch_execz .LBB7_33
; %bb.18:                               ;   in Loop: Header=BB7_15 Depth=1
	v_cmp_ne_u32_e32 vcc, 0, v16
	s_and_saveexec_b64 s[52:53], vcc
	s_xor_b64 s[52:53], exec, s[52:53]
	s_cbranch_execz .LBB7_26
; %bb.19:                               ;   in Loop: Header=BB7_15 Depth=1
	v_cmp_eq_u32_e32 vcc, s26, v16
	s_and_saveexec_b64 s[54:55], vcc
	s_cbranch_execz .LBB7_25
; %bb.20:                               ;   in Loop: Header=BB7_15 Depth=1
	s_mov_b64 s[56:57], -1
	s_and_b64 vcc, exec, s[36:37]
                                        ; implicit-def: $vgpr18_vgpr19
                                        ; implicit-def: $vgpr20_vgpr21
	s_cbranch_vccz .LBB7_22
; %bb.21:                               ;   in Loop: Header=BB7_15 Depth=1
	v_lshl_add_u64 v[22:23], s[34:35], 0, v[14:15]
	flat_load_dwordx4 v[18:21], v[8:9]
	flat_load_dwordx4 v[28:31], v[22:23]
	s_mov_b64 s[56:57], 0
	s_waitcnt vmcnt(0) lgkmcnt(0)
	v_mul_f64 v[22:23], v[20:21], v[30:31]
	v_mul_f64 v[30:31], v[18:19], v[30:31]
	v_fma_f64 v[18:19], v[18:19], v[28:29], -v[22:23]
	v_fmac_f64_e32 v[30:31], v[20:21], v[28:29]
	v_add_f64 v[20:21], v[0:1], v[18:19]
	v_add_f64 v[18:19], v[2:3], v[30:31]
.LBB7_22:                               ;   in Loop: Header=BB7_15 Depth=1
	s_andn2_b64 vcc, exec, s[56:57]
	s_cbranch_vccnz .LBB7_24
; %bb.23:                               ;   in Loop: Header=BB7_15 Depth=1
	v_ashrrev_i32_e32 v13, 31, v12
	v_lshl_add_u64 v[18:19], v[12:13], 4, v[10:11]
	v_lshl_add_u64 v[22:23], s[34:35], 0, v[18:19]
	flat_load_dwordx4 v[18:21], v[8:9]
	s_nop 0
	flat_load_dwordx2 v[22:23], v[22:23]
	s_waitcnt vmcnt(0) lgkmcnt(0)
	v_fmac_f64_e32 v[0:1], v[22:23], v[18:19]
	v_fmac_f64_e32 v[2:3], v[22:23], v[20:21]
	v_mov_b64_e32 v[18:19], v[2:3]
	v_mov_b64_e32 v[20:21], v[0:1]
.LBB7_24:                               ;   in Loop: Header=BB7_15 Depth=1
	v_mov_b64_e32 v[2:3], v[18:19]
	v_mov_b64_e32 v[0:1], v[20:21]
.LBB7_25:                               ;   in Loop: Header=BB7_15 Depth=1
	s_or_b64 exec, exec, s[54:55]
.LBB7_26:                               ;   in Loop: Header=BB7_15 Depth=1
	s_andn2_saveexec_b64 s[52:53], s[52:53]
	s_cbranch_execz .LBB7_32
; %bb.27:                               ;   in Loop: Header=BB7_15 Depth=1
	v_lshl_add_u64 v[18:19], s[34:35], 0, v[10:11]
	s_and_b64 vcc, exec, s[4:5]
	s_mov_b64 s[54:55], -1
                                        ; implicit-def: $vgpr22_vgpr23
                                        ; implicit-def: $vgpr20_vgpr21
	s_cbranch_vccnz .LBB7_29
; %bb.28:                               ;   in Loop: Header=BB7_15 Depth=1
	flat_load_dwordx2 v[28:29], v[18:19]
	flat_load_dwordx4 v[20:23], v[8:9]
	s_mov_b64 s[54:55], 0
	s_waitcnt vmcnt(0) lgkmcnt(0)
	v_fma_f64 v[20:21], v[28:29], v[20:21], v[0:1]
	v_fma_f64 v[22:23], v[28:29], v[22:23], v[2:3]
.LBB7_29:                               ;   in Loop: Header=BB7_15 Depth=1
	s_andn2_b64 vcc, exec, s[54:55]
	s_cbranch_vccnz .LBB7_31
; %bb.30:                               ;   in Loop: Header=BB7_15 Depth=1
	flat_load_dwordx4 v[20:23], v[8:9]
	flat_load_dwordx4 v[28:31], v[18:19]
	s_waitcnt vmcnt(0) lgkmcnt(0)
	v_mul_f64 v[18:19], v[22:23], v[30:31]
	v_mul_f64 v[30:31], v[20:21], v[30:31]
	v_fma_f64 v[18:19], v[20:21], v[28:29], -v[18:19]
	v_fmac_f64_e32 v[30:31], v[22:23], v[28:29]
	v_add_f64 v[20:21], v[0:1], v[18:19]
	v_add_f64 v[22:23], v[2:3], v[30:31]
.LBB7_31:                               ;   in Loop: Header=BB7_15 Depth=1
	v_mov_b64_e32 v[2:3], v[22:23]
	v_mov_b64_e32 v[0:1], v[20:21]
.LBB7_32:                               ;   in Loop: Header=BB7_15 Depth=1
	s_or_b64 exec, exec, s[52:53]
.LBB7_33:                               ;   in Loop: Header=BB7_15 Depth=1
	s_andn2_saveexec_b64 s[8:9], s[8:9]
	s_cbranch_execz .LBB7_35
; %bb.34:                               ;   in Loop: Header=BB7_15 Depth=1
	v_lshl_add_u64 v[18:19], v[16:17], 4, v[10:11]
	v_lshl_add_u64 v[22:23], s[34:35], 0, v[18:19]
	flat_load_dwordx4 v[18:21], v[8:9]
	flat_load_dwordx4 v[28:31], v[22:23]
	s_waitcnt vmcnt(0) lgkmcnt(0)
	v_mul_f64 v[22:23], v[20:21], v[30:31]
	v_mul_f64 v[30:31], v[18:19], v[30:31]
	v_fma_f64 v[18:19], v[18:19], v[28:29], -v[22:23]
	v_fmac_f64_e32 v[30:31], v[20:21], v[28:29]
	v_add_f64 v[0:1], v[0:1], v[18:19]
	v_add_f64 v[2:3], v[2:3], v[30:31]
.LBB7_35:                               ;   in Loop: Header=BB7_15 Depth=1
	s_or_b64 exec, exec, s[8:9]
.LBB7_36:                               ;   in Loop: Header=BB7_15 Depth=1
	s_andn2_saveexec_b64 s[50:51], s[50:51]
	s_cbranch_execz .LBB7_13
; %bb.37:                               ;   in Loop: Header=BB7_15 Depth=1
	v_add_u32_e32 v16, v26, v25
	v_cmp_ge_i32_e32 vcc, s26, v16
	v_cmp_lt_i32_e64 s[8:9], -1, v16
	s_and_b64 s[52:53], vcc, s[8:9]
	s_and_saveexec_b64 s[8:9], s[52:53]
	s_cbranch_execz .LBB7_12
; %bb.38:                               ;   in Loop: Header=BB7_15 Depth=1
	v_lshl_add_u64 v[22:23], v[16:17], 4, v[6:7]
	flat_load_dwordx4 v[18:21], v[8:9]
	flat_load_dwordx4 v[28:31], v[22:23]
	s_waitcnt vmcnt(0) lgkmcnt(0)
	v_mul_f64 v[22:23], v[30:31], v[20:21]
	v_mul_f64 v[30:31], v[30:31], v[18:19]
	v_fmac_f64_e32 v[22:23], v[28:29], v[18:19]
	v_fma_f64 v[18:19], v[28:29], v[20:21], -v[30:31]
	v_add_f64 v[0:1], v[0:1], v[22:23]
	v_add_f64 v[2:3], v[2:3], v[18:19]
	s_branch .LBB7_12
.LBB7_39:
	s_or_b64 exec, exec, s[44:45]
.LBB7_40:
	s_or_b64 exec, exec, s[16:17]
	v_lshlrev_b32_e32 v4, 4, v24
	ds_write_b128 v4, v[0:3]
	s_waitcnt lgkmcnt(0)
	s_barrier
.LBB7_41:
	v_cmp_gt_u32_e32 vcc, 64, v24
	s_and_saveexec_b64 s[0:1], vcc
	s_cbranch_execz .LBB7_56
; %bb.42:
	s_xor_b64 s[0:1], s[30:31], -1
	s_lshl_b64 s[4:5], s[18:19], 4
	s_waitcnt lgkmcnt(0)
	s_add_u32 s4, s10, s4
	v_lshl_or_b32 v10, s2, 6, v24
	s_addc_u32 s5, s11, s5
	s_and_b64 vcc, exec, s[0:1]
	v_cmp_gt_i32_e64 s[0:1], s25, v10
	s_cbranch_vccz .LBB7_48
; %bb.43:
	s_mov_b64 s[6:7], 0
	s_mov_b64 s[2:3], 0
                                        ; implicit-def: $vgpr2_vgpr3
                                        ; implicit-def: $vgpr8_vgpr9
	s_and_saveexec_b64 s[8:9], s[0:1]
	s_xor_b64 s[0:1], exec, s[8:9]
	s_cbranch_execz .LBB7_47
; %bb.44:
	v_cmp_neq_f64_e64 s[2:3], s[12:13], 0
	v_cmp_neq_f64_e64 s[8:9], s[14:15], 0
	v_ashrrev_i32_e32 v0, 31, v10
	v_mul_lo_u32 v1, s29, v10
	v_mul_lo_u32 v0, s28, v0
	v_mad_u64_u32 v[8:9], s[10:11], s28, v10, 0
	s_or_b64 s[2:3], s[2:3], s[8:9]
	v_mov_b64_e32 v[2:3], 0
	v_add3_u32 v9, v9, v0, v1
	s_andn2_b64 vcc, exec, s[2:3]
	v_mov_b64_e32 v[0:1], 0
	s_cbranch_vccnz .LBB7_46
; %bb.45:
	v_lshl_add_u64 v[0:1], v[8:9], 4, s[4:5]
	flat_load_dwordx4 v[4:7], v[0:1]
	s_waitcnt vmcnt(0) lgkmcnt(0)
	v_mul_f64 v[0:1], s[14:15], v[6:7]
	v_mul_f64 v[2:3], s[12:13], v[6:7]
	v_fma_f64 v[0:1], s[12:13], v[4:5], -v[0:1]
	v_fmac_f64_e32 v[2:3], s[14:15], v[4:5]
.LBB7_46:
	s_mov_b64 s[2:3], exec
.LBB7_47:
	s_or_b64 exec, exec, s[0:1]
	s_and_b64 vcc, exec, s[6:7]
	s_cbranch_vccnz .LBB7_49
	s_branch .LBB7_54
.LBB7_48:
	s_mov_b64 s[2:3], 0
                                        ; implicit-def: $vgpr2_vgpr3
                                        ; implicit-def: $vgpr8_vgpr9
	s_cbranch_execz .LBB7_54
.LBB7_49:
	v_lshlrev_b32_e32 v11, 4, v24
	ds_read_b128 v[0:3], v11
	ds_read_b128 v[4:7], v11 offset:1024
	ds_read_b128 v[12:15], v11 offset:2048
	;; [unrolled: 1-line block ×3, first 2 shown]
	v_cmp_gt_i32_e32 vcc, s25, v10
	s_waitcnt lgkmcnt(2)
	v_add_f64 v[0:1], v[0:1], v[4:5]
	v_add_f64 v[4:5], v[2:3], v[6:7]
	s_waitcnt lgkmcnt(1)
	v_add_f64 v[6:7], v[0:1], v[12:13]
	ds_read_b128 v[0:3], v11 offset:4096
	v_add_f64 v[8:9], v[4:5], v[14:15]
	s_waitcnt lgkmcnt(1)
	v_add_f64 v[12:13], v[6:7], v[16:17]
	ds_read_b128 v[4:7], v11 offset:5120
	;; [unrolled: 4-line block ×9, first 2 shown]
	v_add_f64 v[2:3], v[8:9], v[2:3]
	s_waitcnt lgkmcnt(1)
	v_add_f64 v[4:5], v[0:1], v[4:5]
	v_add_f64 v[8:9], v[2:3], v[6:7]
	ds_read_b128 v[0:3], v11 offset:13312
	s_waitcnt lgkmcnt(1)
	v_add_f64 v[16:17], v[4:5], v[12:13]
	ds_read_b128 v[4:7], v11 offset:14336
	v_add_f64 v[8:9], v[8:9], v[14:15]
	ds_read_b128 v[12:15], v11 offset:15360
	s_waitcnt lgkmcnt(2)
	v_add_f64 v[0:1], v[16:17], v[0:1]
	v_add_f64 v[2:3], v[8:9], v[2:3]
	s_waitcnt lgkmcnt(1)
	v_add_f64 v[0:1], v[0:1], v[4:5]
	v_add_f64 v[2:3], v[2:3], v[6:7]
	;; [unrolled: 3-line block ×3, first 2 shown]
	ds_write_b128 v11, v[4:7]
                                        ; implicit-def: $vgpr2_vgpr3
                                        ; implicit-def: $vgpr8_vgpr9
	s_and_saveexec_b64 s[0:1], vcc
	s_cbranch_execz .LBB7_53
; %bb.50:
	v_mul_f64 v[0:1], s[22:23], v[6:7]
	v_mul_f64 v[2:3], s[20:21], v[6:7]
	v_cmp_neq_f64_e64 s[6:7], s[12:13], 0
	v_cmp_neq_f64_e64 s[8:9], s[14:15], 0
	v_fma_f64 v[0:1], s[20:21], v[4:5], -v[0:1]
	v_fmac_f64_e32 v[2:3], s[22:23], v[4:5]
	v_ashrrev_i32_e32 v4, 31, v10
	v_mul_lo_u32 v5, s29, v10
	v_mul_lo_u32 v4, s28, v4
	v_mad_u64_u32 v[8:9], s[10:11], s28, v10, 0
	s_or_b64 s[6:7], s[6:7], s[8:9]
	s_andn2_b64 vcc, exec, s[6:7]
	v_add3_u32 v9, v9, v4, v5
	s_cbranch_vccnz .LBB7_52
; %bb.51:
	v_lshl_add_u64 v[4:5], v[8:9], 4, s[4:5]
	flat_load_dwordx4 v[4:7], v[4:5]
	s_waitcnt vmcnt(0) lgkmcnt(0)
	v_mul_f64 v[10:11], s[14:15], v[6:7]
	v_mul_f64 v[6:7], s[12:13], v[6:7]
	v_fma_f64 v[10:11], s[12:13], v[4:5], -v[10:11]
	v_fmac_f64_e32 v[6:7], s[14:15], v[4:5]
	v_add_f64 v[0:1], v[0:1], v[10:11]
	v_add_f64 v[2:3], v[2:3], v[6:7]
.LBB7_52:
	s_or_b64 s[2:3], s[2:3], exec
.LBB7_53:
	s_or_b64 exec, exec, s[0:1]
.LBB7_54:
	s_and_b64 exec, exec, s[2:3]
	s_cbranch_execz .LBB7_56
; %bb.55:
	v_lshl_add_u64 v[4:5], v[8:9], 4, s[4:5]
	flat_store_dwordx4 v[4:5], v[0:3]
.LBB7_56:
	s_endpgm
	.section	.rodata,"a",@progbits
	.p2align	6, 0x0
	.amdhsa_kernel _ZL20rocblas_hbmvn_kernelILi64ELi16E19rocblas_complex_numIdEPKPKS1_PKPS1_EvbiiT1_T2_lllSA_lllS9_T3_llli
		.amdhsa_group_segment_fixed_size 16384
		.amdhsa_private_segment_fixed_size 0
		.amdhsa_kernarg_size 408
		.amdhsa_user_sgpr_count 2
		.amdhsa_user_sgpr_dispatch_ptr 0
		.amdhsa_user_sgpr_queue_ptr 0
		.amdhsa_user_sgpr_kernarg_segment_ptr 1
		.amdhsa_user_sgpr_dispatch_id 0
		.amdhsa_user_sgpr_kernarg_preload_length 0
		.amdhsa_user_sgpr_kernarg_preload_offset 0
		.amdhsa_user_sgpr_private_segment_size 0
		.amdhsa_uses_dynamic_stack 0
		.amdhsa_enable_private_segment 0
		.amdhsa_system_sgpr_workgroup_id_x 1
		.amdhsa_system_sgpr_workgroup_id_y 0
		.amdhsa_system_sgpr_workgroup_id_z 1
		.amdhsa_system_sgpr_workgroup_info 0
		.amdhsa_system_vgpr_workitem_id 1
		.amdhsa_next_free_vgpr 32
		.amdhsa_next_free_sgpr 58
		.amdhsa_accum_offset 32
		.amdhsa_reserve_vcc 1
		.amdhsa_float_round_mode_32 0
		.amdhsa_float_round_mode_16_64 0
		.amdhsa_float_denorm_mode_32 3
		.amdhsa_float_denorm_mode_16_64 3
		.amdhsa_dx10_clamp 1
		.amdhsa_ieee_mode 1
		.amdhsa_fp16_overflow 0
		.amdhsa_tg_split 0
		.amdhsa_exception_fp_ieee_invalid_op 0
		.amdhsa_exception_fp_denorm_src 0
		.amdhsa_exception_fp_ieee_div_zero 0
		.amdhsa_exception_fp_ieee_overflow 0
		.amdhsa_exception_fp_ieee_underflow 0
		.amdhsa_exception_fp_ieee_inexact 0
		.amdhsa_exception_int_div_zero 0
	.end_amdhsa_kernel
	.section	.text._ZL20rocblas_hbmvn_kernelILi64ELi16E19rocblas_complex_numIdEPKPKS1_PKPS1_EvbiiT1_T2_lllSA_lllS9_T3_llli,"axG",@progbits,_ZL20rocblas_hbmvn_kernelILi64ELi16E19rocblas_complex_numIdEPKPKS1_PKPS1_EvbiiT1_T2_lllSA_lllS9_T3_llli,comdat
.Lfunc_end7:
	.size	_ZL20rocblas_hbmvn_kernelILi64ELi16E19rocblas_complex_numIdEPKPKS1_PKPS1_EvbiiT1_T2_lllSA_lllS9_T3_llli, .Lfunc_end7-_ZL20rocblas_hbmvn_kernelILi64ELi16E19rocblas_complex_numIdEPKPKS1_PKPS1_EvbiiT1_T2_lllSA_lllS9_T3_llli
                                        ; -- End function
	.set _ZL20rocblas_hbmvn_kernelILi64ELi16E19rocblas_complex_numIdEPKPKS1_PKPS1_EvbiiT1_T2_lllSA_lllS9_T3_llli.num_vgpr, 32
	.set _ZL20rocblas_hbmvn_kernelILi64ELi16E19rocblas_complex_numIdEPKPKS1_PKPS1_EvbiiT1_T2_lllSA_lllS9_T3_llli.num_agpr, 0
	.set _ZL20rocblas_hbmvn_kernelILi64ELi16E19rocblas_complex_numIdEPKPKS1_PKPS1_EvbiiT1_T2_lllSA_lllS9_T3_llli.numbered_sgpr, 58
	.set _ZL20rocblas_hbmvn_kernelILi64ELi16E19rocblas_complex_numIdEPKPKS1_PKPS1_EvbiiT1_T2_lllSA_lllS9_T3_llli.num_named_barrier, 0
	.set _ZL20rocblas_hbmvn_kernelILi64ELi16E19rocblas_complex_numIdEPKPKS1_PKPS1_EvbiiT1_T2_lllSA_lllS9_T3_llli.private_seg_size, 0
	.set _ZL20rocblas_hbmvn_kernelILi64ELi16E19rocblas_complex_numIdEPKPKS1_PKPS1_EvbiiT1_T2_lllSA_lllS9_T3_llli.uses_vcc, 1
	.set _ZL20rocblas_hbmvn_kernelILi64ELi16E19rocblas_complex_numIdEPKPKS1_PKPS1_EvbiiT1_T2_lllSA_lllS9_T3_llli.uses_flat_scratch, 0
	.set _ZL20rocblas_hbmvn_kernelILi64ELi16E19rocblas_complex_numIdEPKPKS1_PKPS1_EvbiiT1_T2_lllSA_lllS9_T3_llli.has_dyn_sized_stack, 0
	.set _ZL20rocblas_hbmvn_kernelILi64ELi16E19rocblas_complex_numIdEPKPKS1_PKPS1_EvbiiT1_T2_lllSA_lllS9_T3_llli.has_recursion, 0
	.set _ZL20rocblas_hbmvn_kernelILi64ELi16E19rocblas_complex_numIdEPKPKS1_PKPS1_EvbiiT1_T2_lllSA_lllS9_T3_llli.has_indirect_call, 0
	.section	.AMDGPU.csdata,"",@progbits
; Kernel info:
; codeLenInByte = 2328
; TotalNumSgprs: 64
; NumVgprs: 32
; NumAgprs: 0
; TotalNumVgprs: 32
; ScratchSize: 0
; MemoryBound: 1
; FloatMode: 240
; IeeeMode: 1
; LDSByteSize: 16384 bytes/workgroup (compile time only)
; SGPRBlocks: 7
; VGPRBlocks: 3
; NumSGPRsForWavesPerEU: 64
; NumVGPRsForWavesPerEU: 32
; AccumOffset: 32
; Occupancy: 8
; WaveLimiterHint : 1
; COMPUTE_PGM_RSRC2:SCRATCH_EN: 0
; COMPUTE_PGM_RSRC2:USER_SGPR: 2
; COMPUTE_PGM_RSRC2:TRAP_HANDLER: 0
; COMPUTE_PGM_RSRC2:TGID_X_EN: 1
; COMPUTE_PGM_RSRC2:TGID_Y_EN: 0
; COMPUTE_PGM_RSRC2:TGID_Z_EN: 1
; COMPUTE_PGM_RSRC2:TIDIG_COMP_CNT: 1
; COMPUTE_PGM_RSRC3_GFX90A:ACCUM_OFFSET: 7
; COMPUTE_PGM_RSRC3_GFX90A:TG_SPLIT: 0
	.section	.AMDGPU.gpr_maximums,"",@progbits
	.set amdgpu.max_num_vgpr, 0
	.set amdgpu.max_num_agpr, 0
	.set amdgpu.max_num_sgpr, 0
	.section	.AMDGPU.csdata,"",@progbits
	.type	__hip_cuid_fe0e1f1debaaa5a8,@object ; @__hip_cuid_fe0e1f1debaaa5a8
	.section	.bss,"aw",@nobits
	.globl	__hip_cuid_fe0e1f1debaaa5a8
__hip_cuid_fe0e1f1debaaa5a8:
	.byte	0                               ; 0x0
	.size	__hip_cuid_fe0e1f1debaaa5a8, 1

	.ident	"AMD clang version 22.0.0git (https://github.com/RadeonOpenCompute/llvm-project roc-7.2.4 26084 f58b06dce1f9c15707c5f808fd002e18c2accf7e)"
	.section	".note.GNU-stack","",@progbits
	.addrsig
	.addrsig_sym __hip_cuid_fe0e1f1debaaa5a8
	.amdgpu_metadata
---
amdhsa.kernels:
  - .agpr_count:     0
    .args:
      - .offset:         0
        .size:           1
        .value_kind:     by_value
      - .offset:         4
        .size:           4
        .value_kind:     by_value
      - .offset:         8
        .size:           4
        .value_kind:     by_value
      - .address_space:  global
        .offset:         16
        .size:           8
        .value_kind:     global_buffer
      - .address_space:  global
        .offset:         24
        .size:           8
        .value_kind:     global_buffer
      - .offset:         32
        .size:           8
        .value_kind:     by_value
      - .offset:         40
        .size:           8
        .value_kind:     by_value
      - .offset:         48
        .size:           8
        .value_kind:     by_value
      - .address_space:  global
        .offset:         56
        .size:           8
        .value_kind:     global_buffer
      - .offset:         64
        .size:           8
        .value_kind:     by_value
      - .offset:         72
        .size:           8
        .value_kind:     by_value
      - .offset:         80
        .size:           8
        .value_kind:     by_value
      - .address_space:  global
        .offset:         88
        .size:           8
        .value_kind:     global_buffer
      - .address_space:  global
        .offset:         96
        .size:           8
        .value_kind:     global_buffer
      - .offset:         104
        .size:           8
        .value_kind:     by_value
      - .offset:         112
        .size:           8
        .value_kind:     by_value
      - .offset:         120
        .size:           8
        .value_kind:     by_value
      - .offset:         128
        .size:           4
        .value_kind:     by_value
      - .offset:         136
        .size:           4
        .value_kind:     hidden_block_count_x
      - .offset:         140
        .size:           4
        .value_kind:     hidden_block_count_y
      - .offset:         144
        .size:           4
        .value_kind:     hidden_block_count_z
      - .offset:         148
        .size:           2
        .value_kind:     hidden_group_size_x
      - .offset:         150
        .size:           2
        .value_kind:     hidden_group_size_y
      - .offset:         152
        .size:           2
        .value_kind:     hidden_group_size_z
      - .offset:         154
        .size:           2
        .value_kind:     hidden_remainder_x
      - .offset:         156
        .size:           2
        .value_kind:     hidden_remainder_y
      - .offset:         158
        .size:           2
        .value_kind:     hidden_remainder_z
      - .offset:         176
        .size:           8
        .value_kind:     hidden_global_offset_x
      - .offset:         184
        .size:           8
        .value_kind:     hidden_global_offset_y
      - .offset:         192
        .size:           8
        .value_kind:     hidden_global_offset_z
      - .offset:         200
        .size:           2
        .value_kind:     hidden_grid_dims
    .group_segment_fixed_size: 8192
    .kernarg_segment_align: 8
    .kernarg_segment_size: 392
    .language:       OpenCL C
    .language_version:
      - 2
      - 0
    .max_flat_workgroup_size: 1024
    .name:           _ZL20rocblas_hbmvn_kernelILi64ELi16EPK19rocblas_complex_numIfES3_PS1_EvbiiT1_T2_lllS6_lllS5_T3_llli
    .private_segment_fixed_size: 0
    .sgpr_count:     60
    .sgpr_spill_count: 0
    .symbol:         _ZL20rocblas_hbmvn_kernelILi64ELi16EPK19rocblas_complex_numIfES3_PS1_EvbiiT1_T2_lllS6_lllS5_T3_llli.kd
    .uniform_work_group_size: 1
    .uses_dynamic_stack: false
    .vgpr_count:     28
    .vgpr_spill_count: 0
    .wavefront_size: 64
  - .agpr_count:     0
    .args:
      - .offset:         0
        .size:           1
        .value_kind:     by_value
      - .offset:         4
        .size:           4
        .value_kind:     by_value
      - .offset:         8
        .size:           4
        .value_kind:     by_value
      - .offset:         12
        .size:           8
        .value_kind:     by_value
      - .address_space:  global
        .offset:         24
        .size:           8
        .value_kind:     global_buffer
      - .offset:         32
        .size:           8
        .value_kind:     by_value
      - .offset:         40
        .size:           8
        .value_kind:     by_value
      - .offset:         48
        .size:           8
        .value_kind:     by_value
      - .address_space:  global
        .offset:         56
        .size:           8
        .value_kind:     global_buffer
      - .offset:         64
        .size:           8
        .value_kind:     by_value
      - .offset:         72
        .size:           8
        .value_kind:     by_value
      - .offset:         80
        .size:           8
        .value_kind:     by_value
      - .offset:         88
        .size:           8
        .value_kind:     by_value
      - .address_space:  global
        .offset:         96
        .size:           8
        .value_kind:     global_buffer
      - .offset:         104
        .size:           8
        .value_kind:     by_value
      - .offset:         112
        .size:           8
        .value_kind:     by_value
      - .offset:         120
        .size:           8
        .value_kind:     by_value
      - .offset:         128
        .size:           4
        .value_kind:     by_value
      - .offset:         136
        .size:           4
        .value_kind:     hidden_block_count_x
      - .offset:         140
        .size:           4
        .value_kind:     hidden_block_count_y
      - .offset:         144
        .size:           4
        .value_kind:     hidden_block_count_z
      - .offset:         148
        .size:           2
        .value_kind:     hidden_group_size_x
      - .offset:         150
        .size:           2
        .value_kind:     hidden_group_size_y
      - .offset:         152
        .size:           2
        .value_kind:     hidden_group_size_z
      - .offset:         154
        .size:           2
        .value_kind:     hidden_remainder_x
      - .offset:         156
        .size:           2
        .value_kind:     hidden_remainder_y
      - .offset:         158
        .size:           2
        .value_kind:     hidden_remainder_z
      - .offset:         176
        .size:           8
        .value_kind:     hidden_global_offset_x
      - .offset:         184
        .size:           8
        .value_kind:     hidden_global_offset_y
      - .offset:         192
        .size:           8
        .value_kind:     hidden_global_offset_z
      - .offset:         200
        .size:           2
        .value_kind:     hidden_grid_dims
    .group_segment_fixed_size: 8192
    .kernarg_segment_align: 8
    .kernarg_segment_size: 392
    .language:       OpenCL C
    .language_version:
      - 2
      - 0
    .max_flat_workgroup_size: 1024
    .name:           _ZL20rocblas_hbmvn_kernelILi64ELi16E19rocblas_complex_numIfEPKS1_PS1_EvbiiT1_T2_lllS6_lllS5_T3_llli
    .private_segment_fixed_size: 0
    .sgpr_count:     54
    .sgpr_spill_count: 0
    .symbol:         _ZL20rocblas_hbmvn_kernelILi64ELi16E19rocblas_complex_numIfEPKS1_PS1_EvbiiT1_T2_lllS6_lllS5_T3_llli.kd
    .uniform_work_group_size: 1
    .uses_dynamic_stack: false
    .vgpr_count:     28
    .vgpr_spill_count: 0
    .wavefront_size: 64
  - .agpr_count:     0
    .args:
      - .offset:         0
        .size:           1
        .value_kind:     by_value
      - .offset:         4
        .size:           4
        .value_kind:     by_value
      - .offset:         8
        .size:           4
        .value_kind:     by_value
      - .address_space:  global
        .offset:         16
        .size:           8
        .value_kind:     global_buffer
      - .address_space:  global
        .offset:         24
        .size:           8
        .value_kind:     global_buffer
      - .offset:         32
        .size:           8
        .value_kind:     by_value
      - .offset:         40
        .size:           8
        .value_kind:     by_value
      - .offset:         48
        .size:           8
        .value_kind:     by_value
      - .address_space:  global
        .offset:         56
        .size:           8
        .value_kind:     global_buffer
      - .offset:         64
        .size:           8
        .value_kind:     by_value
      - .offset:         72
        .size:           8
        .value_kind:     by_value
      - .offset:         80
        .size:           8
        .value_kind:     by_value
      - .address_space:  global
        .offset:         88
        .size:           8
        .value_kind:     global_buffer
      - .address_space:  global
        .offset:         96
        .size:           8
        .value_kind:     global_buffer
      - .offset:         104
        .size:           8
        .value_kind:     by_value
      - .offset:         112
        .size:           8
        .value_kind:     by_value
      - .offset:         120
        .size:           8
        .value_kind:     by_value
      - .offset:         128
        .size:           4
        .value_kind:     by_value
      - .offset:         136
        .size:           4
        .value_kind:     hidden_block_count_x
      - .offset:         140
        .size:           4
        .value_kind:     hidden_block_count_y
      - .offset:         144
        .size:           4
        .value_kind:     hidden_block_count_z
      - .offset:         148
        .size:           2
        .value_kind:     hidden_group_size_x
      - .offset:         150
        .size:           2
        .value_kind:     hidden_group_size_y
      - .offset:         152
        .size:           2
        .value_kind:     hidden_group_size_z
      - .offset:         154
        .size:           2
        .value_kind:     hidden_remainder_x
      - .offset:         156
        .size:           2
        .value_kind:     hidden_remainder_y
      - .offset:         158
        .size:           2
        .value_kind:     hidden_remainder_z
      - .offset:         176
        .size:           8
        .value_kind:     hidden_global_offset_x
      - .offset:         184
        .size:           8
        .value_kind:     hidden_global_offset_y
      - .offset:         192
        .size:           8
        .value_kind:     hidden_global_offset_z
      - .offset:         200
        .size:           2
        .value_kind:     hidden_grid_dims
    .group_segment_fixed_size: 16384
    .kernarg_segment_align: 8
    .kernarg_segment_size: 392
    .language:       OpenCL C
    .language_version:
      - 2
      - 0
    .max_flat_workgroup_size: 1024
    .name:           _ZL20rocblas_hbmvn_kernelILi64ELi16EPK19rocblas_complex_numIdES3_PS1_EvbiiT1_T2_lllS6_lllS5_T3_llli
    .private_segment_fixed_size: 0
    .sgpr_count:     66
    .sgpr_spill_count: 0
    .symbol:         _ZL20rocblas_hbmvn_kernelILi64ELi16EPK19rocblas_complex_numIdES3_PS1_EvbiiT1_T2_lllS6_lllS5_T3_llli.kd
    .uniform_work_group_size: 1
    .uses_dynamic_stack: false
    .vgpr_count:     34
    .vgpr_spill_count: 0
    .wavefront_size: 64
  - .agpr_count:     0
    .args:
      - .offset:         0
        .size:           1
        .value_kind:     by_value
      - .offset:         4
        .size:           4
        .value_kind:     by_value
      - .offset:         8
        .size:           4
        .value_kind:     by_value
      - .offset:         16
        .size:           16
        .value_kind:     by_value
      - .address_space:  global
        .offset:         32
        .size:           8
        .value_kind:     global_buffer
      - .offset:         40
        .size:           8
        .value_kind:     by_value
      - .offset:         48
        .size:           8
        .value_kind:     by_value
      - .offset:         56
        .size:           8
        .value_kind:     by_value
      - .address_space:  global
        .offset:         64
        .size:           8
        .value_kind:     global_buffer
      - .offset:         72
        .size:           8
        .value_kind:     by_value
      - .offset:         80
        .size:           8
        .value_kind:     by_value
      - .offset:         88
        .size:           8
        .value_kind:     by_value
      - .offset:         96
        .size:           16
        .value_kind:     by_value
      - .address_space:  global
        .offset:         112
        .size:           8
        .value_kind:     global_buffer
      - .offset:         120
        .size:           8
        .value_kind:     by_value
      - .offset:         128
        .size:           8
        .value_kind:     by_value
      - .offset:         136
        .size:           8
        .value_kind:     by_value
      - .offset:         144
        .size:           4
        .value_kind:     by_value
      - .offset:         152
        .size:           4
        .value_kind:     hidden_block_count_x
      - .offset:         156
        .size:           4
        .value_kind:     hidden_block_count_y
      - .offset:         160
        .size:           4
        .value_kind:     hidden_block_count_z
      - .offset:         164
        .size:           2
        .value_kind:     hidden_group_size_x
      - .offset:         166
        .size:           2
        .value_kind:     hidden_group_size_y
      - .offset:         168
        .size:           2
        .value_kind:     hidden_group_size_z
      - .offset:         170
        .size:           2
        .value_kind:     hidden_remainder_x
      - .offset:         172
        .size:           2
        .value_kind:     hidden_remainder_y
      - .offset:         174
        .size:           2
        .value_kind:     hidden_remainder_z
      - .offset:         192
        .size:           8
        .value_kind:     hidden_global_offset_x
      - .offset:         200
        .size:           8
        .value_kind:     hidden_global_offset_y
      - .offset:         208
        .size:           8
        .value_kind:     hidden_global_offset_z
      - .offset:         216
        .size:           2
        .value_kind:     hidden_grid_dims
    .group_segment_fixed_size: 16384
    .kernarg_segment_align: 8
    .kernarg_segment_size: 408
    .language:       OpenCL C
    .language_version:
      - 2
      - 0
    .max_flat_workgroup_size: 1024
    .name:           _ZL20rocblas_hbmvn_kernelILi64ELi16E19rocblas_complex_numIdEPKS1_PS1_EvbiiT1_T2_lllS6_lllS5_T3_llli
    .private_segment_fixed_size: 0
    .sgpr_count:     66
    .sgpr_spill_count: 0
    .symbol:         _ZL20rocblas_hbmvn_kernelILi64ELi16E19rocblas_complex_numIdEPKS1_PS1_EvbiiT1_T2_lllS6_lllS5_T3_llli.kd
    .uniform_work_group_size: 1
    .uses_dynamic_stack: false
    .vgpr_count:     34
    .vgpr_spill_count: 0
    .wavefront_size: 64
  - .agpr_count:     0
    .args:
      - .offset:         0
        .size:           1
        .value_kind:     by_value
      - .offset:         4
        .size:           4
        .value_kind:     by_value
      - .offset:         8
        .size:           4
        .value_kind:     by_value
      - .address_space:  global
        .offset:         16
        .size:           8
        .value_kind:     global_buffer
      - .address_space:  global
        .offset:         24
        .size:           8
        .value_kind:     global_buffer
      - .offset:         32
        .size:           8
        .value_kind:     by_value
      - .offset:         40
        .size:           8
        .value_kind:     by_value
      - .offset:         48
        .size:           8
        .value_kind:     by_value
      - .address_space:  global
        .offset:         56
        .size:           8
        .value_kind:     global_buffer
      - .offset:         64
        .size:           8
        .value_kind:     by_value
      - .offset:         72
        .size:           8
        .value_kind:     by_value
      - .offset:         80
        .size:           8
        .value_kind:     by_value
      - .address_space:  global
        .offset:         88
        .size:           8
        .value_kind:     global_buffer
      - .address_space:  global
        .offset:         96
        .size:           8
        .value_kind:     global_buffer
      - .offset:         104
        .size:           8
        .value_kind:     by_value
      - .offset:         112
        .size:           8
        .value_kind:     by_value
      - .offset:         120
        .size:           8
        .value_kind:     by_value
      - .offset:         128
        .size:           4
        .value_kind:     by_value
      - .offset:         136
        .size:           4
        .value_kind:     hidden_block_count_x
      - .offset:         140
        .size:           4
        .value_kind:     hidden_block_count_y
      - .offset:         144
        .size:           4
        .value_kind:     hidden_block_count_z
      - .offset:         148
        .size:           2
        .value_kind:     hidden_group_size_x
      - .offset:         150
        .size:           2
        .value_kind:     hidden_group_size_y
      - .offset:         152
        .size:           2
        .value_kind:     hidden_group_size_z
      - .offset:         154
        .size:           2
        .value_kind:     hidden_remainder_x
      - .offset:         156
        .size:           2
        .value_kind:     hidden_remainder_y
      - .offset:         158
        .size:           2
        .value_kind:     hidden_remainder_z
      - .offset:         176
        .size:           8
        .value_kind:     hidden_global_offset_x
      - .offset:         184
        .size:           8
        .value_kind:     hidden_global_offset_y
      - .offset:         192
        .size:           8
        .value_kind:     hidden_global_offset_z
      - .offset:         200
        .size:           2
        .value_kind:     hidden_grid_dims
    .group_segment_fixed_size: 8192
    .kernarg_segment_align: 8
    .kernarg_segment_size: 392
    .language:       OpenCL C
    .language_version:
      - 2
      - 0
    .max_flat_workgroup_size: 1024
    .name:           _ZL20rocblas_hbmvn_kernelILi64ELi16EPK19rocblas_complex_numIfEPKS3_PKPS1_EvbiiT1_T2_lllSA_lllS9_T3_llli
    .private_segment_fixed_size: 0
    .sgpr_count:     58
    .sgpr_spill_count: 0
    .symbol:         _ZL20rocblas_hbmvn_kernelILi64ELi16EPK19rocblas_complex_numIfEPKS3_PKPS1_EvbiiT1_T2_lllSA_lllS9_T3_llli.kd
    .uniform_work_group_size: 1
    .uses_dynamic_stack: false
    .vgpr_count:     28
    .vgpr_spill_count: 0
    .wavefront_size: 64
  - .agpr_count:     0
    .args:
      - .offset:         0
        .size:           1
        .value_kind:     by_value
      - .offset:         4
        .size:           4
        .value_kind:     by_value
      - .offset:         8
        .size:           4
        .value_kind:     by_value
      - .offset:         12
        .size:           8
        .value_kind:     by_value
      - .address_space:  global
        .offset:         24
        .size:           8
        .value_kind:     global_buffer
      - .offset:         32
        .size:           8
        .value_kind:     by_value
      - .offset:         40
        .size:           8
        .value_kind:     by_value
      - .offset:         48
        .size:           8
        .value_kind:     by_value
      - .address_space:  global
        .offset:         56
        .size:           8
        .value_kind:     global_buffer
      - .offset:         64
        .size:           8
        .value_kind:     by_value
      - .offset:         72
        .size:           8
        .value_kind:     by_value
      - .offset:         80
        .size:           8
        .value_kind:     by_value
      - .offset:         88
        .size:           8
        .value_kind:     by_value
      - .address_space:  global
        .offset:         96
        .size:           8
        .value_kind:     global_buffer
      - .offset:         104
        .size:           8
        .value_kind:     by_value
      - .offset:         112
        .size:           8
        .value_kind:     by_value
      - .offset:         120
        .size:           8
        .value_kind:     by_value
      - .offset:         128
        .size:           4
        .value_kind:     by_value
      - .offset:         136
        .size:           4
        .value_kind:     hidden_block_count_x
      - .offset:         140
        .size:           4
        .value_kind:     hidden_block_count_y
      - .offset:         144
        .size:           4
        .value_kind:     hidden_block_count_z
      - .offset:         148
        .size:           2
        .value_kind:     hidden_group_size_x
      - .offset:         150
        .size:           2
        .value_kind:     hidden_group_size_y
      - .offset:         152
        .size:           2
        .value_kind:     hidden_group_size_z
      - .offset:         154
        .size:           2
        .value_kind:     hidden_remainder_x
      - .offset:         156
        .size:           2
        .value_kind:     hidden_remainder_y
      - .offset:         158
        .size:           2
        .value_kind:     hidden_remainder_z
      - .offset:         176
        .size:           8
        .value_kind:     hidden_global_offset_x
      - .offset:         184
        .size:           8
        .value_kind:     hidden_global_offset_y
      - .offset:         192
        .size:           8
        .value_kind:     hidden_global_offset_z
      - .offset:         200
        .size:           2
        .value_kind:     hidden_grid_dims
    .group_segment_fixed_size: 8192
    .kernarg_segment_align: 8
    .kernarg_segment_size: 392
    .language:       OpenCL C
    .language_version:
      - 2
      - 0
    .max_flat_workgroup_size: 1024
    .name:           _ZL20rocblas_hbmvn_kernelILi64ELi16E19rocblas_complex_numIfEPKPKS1_PKPS1_EvbiiT1_T2_lllSA_lllS9_T3_llli
    .private_segment_fixed_size: 0
    .sgpr_count:     58
    .sgpr_spill_count: 0
    .symbol:         _ZL20rocblas_hbmvn_kernelILi64ELi16E19rocblas_complex_numIfEPKPKS1_PKPS1_EvbiiT1_T2_lllSA_lllS9_T3_llli.kd
    .uniform_work_group_size: 1
    .uses_dynamic_stack: false
    .vgpr_count:     28
    .vgpr_spill_count: 0
    .wavefront_size: 64
  - .agpr_count:     0
    .args:
      - .offset:         0
        .size:           1
        .value_kind:     by_value
      - .offset:         4
        .size:           4
        .value_kind:     by_value
      - .offset:         8
        .size:           4
        .value_kind:     by_value
      - .address_space:  global
        .offset:         16
        .size:           8
        .value_kind:     global_buffer
      - .address_space:  global
        .offset:         24
        .size:           8
        .value_kind:     global_buffer
      - .offset:         32
        .size:           8
        .value_kind:     by_value
      - .offset:         40
        .size:           8
        .value_kind:     by_value
      - .offset:         48
        .size:           8
        .value_kind:     by_value
      - .address_space:  global
        .offset:         56
        .size:           8
        .value_kind:     global_buffer
      - .offset:         64
        .size:           8
        .value_kind:     by_value
      - .offset:         72
        .size:           8
        .value_kind:     by_value
      - .offset:         80
        .size:           8
        .value_kind:     by_value
      - .address_space:  global
        .offset:         88
        .size:           8
        .value_kind:     global_buffer
      - .address_space:  global
        .offset:         96
        .size:           8
        .value_kind:     global_buffer
      - .offset:         104
        .size:           8
        .value_kind:     by_value
      - .offset:         112
        .size:           8
        .value_kind:     by_value
      - .offset:         120
        .size:           8
        .value_kind:     by_value
      - .offset:         128
        .size:           4
        .value_kind:     by_value
      - .offset:         136
        .size:           4
        .value_kind:     hidden_block_count_x
      - .offset:         140
        .size:           4
        .value_kind:     hidden_block_count_y
      - .offset:         144
        .size:           4
        .value_kind:     hidden_block_count_z
      - .offset:         148
        .size:           2
        .value_kind:     hidden_group_size_x
      - .offset:         150
        .size:           2
        .value_kind:     hidden_group_size_y
      - .offset:         152
        .size:           2
        .value_kind:     hidden_group_size_z
      - .offset:         154
        .size:           2
        .value_kind:     hidden_remainder_x
      - .offset:         156
        .size:           2
        .value_kind:     hidden_remainder_y
      - .offset:         158
        .size:           2
        .value_kind:     hidden_remainder_z
      - .offset:         176
        .size:           8
        .value_kind:     hidden_global_offset_x
      - .offset:         184
        .size:           8
        .value_kind:     hidden_global_offset_y
      - .offset:         192
        .size:           8
        .value_kind:     hidden_global_offset_z
      - .offset:         200
        .size:           2
        .value_kind:     hidden_grid_dims
    .group_segment_fixed_size: 16384
    .kernarg_segment_align: 8
    .kernarg_segment_size: 392
    .language:       OpenCL C
    .language_version:
      - 2
      - 0
    .max_flat_workgroup_size: 1024
    .name:           _ZL20rocblas_hbmvn_kernelILi64ELi16EPK19rocblas_complex_numIdEPKS3_PKPS1_EvbiiT1_T2_lllSA_lllS9_T3_llli
    .private_segment_fixed_size: 0
    .sgpr_count:     64
    .sgpr_spill_count: 0
    .symbol:         _ZL20rocblas_hbmvn_kernelILi64ELi16EPK19rocblas_complex_numIdEPKS3_PKPS1_EvbiiT1_T2_lllSA_lllS9_T3_llli.kd
    .uniform_work_group_size: 1
    .uses_dynamic_stack: false
    .vgpr_count:     32
    .vgpr_spill_count: 0
    .wavefront_size: 64
  - .agpr_count:     0
    .args:
      - .offset:         0
        .size:           1
        .value_kind:     by_value
      - .offset:         4
        .size:           4
        .value_kind:     by_value
      - .offset:         8
        .size:           4
        .value_kind:     by_value
      - .offset:         16
        .size:           16
        .value_kind:     by_value
      - .address_space:  global
        .offset:         32
        .size:           8
        .value_kind:     global_buffer
      - .offset:         40
        .size:           8
        .value_kind:     by_value
      - .offset:         48
        .size:           8
        .value_kind:     by_value
      - .offset:         56
        .size:           8
        .value_kind:     by_value
      - .address_space:  global
        .offset:         64
        .size:           8
        .value_kind:     global_buffer
      - .offset:         72
        .size:           8
        .value_kind:     by_value
      - .offset:         80
        .size:           8
        .value_kind:     by_value
      - .offset:         88
        .size:           8
        .value_kind:     by_value
      - .offset:         96
        .size:           16
        .value_kind:     by_value
      - .address_space:  global
        .offset:         112
        .size:           8
        .value_kind:     global_buffer
      - .offset:         120
        .size:           8
        .value_kind:     by_value
      - .offset:         128
        .size:           8
        .value_kind:     by_value
      - .offset:         136
        .size:           8
        .value_kind:     by_value
      - .offset:         144
        .size:           4
        .value_kind:     by_value
      - .offset:         152
        .size:           4
        .value_kind:     hidden_block_count_x
      - .offset:         156
        .size:           4
        .value_kind:     hidden_block_count_y
      - .offset:         160
        .size:           4
        .value_kind:     hidden_block_count_z
      - .offset:         164
        .size:           2
        .value_kind:     hidden_group_size_x
      - .offset:         166
        .size:           2
        .value_kind:     hidden_group_size_y
      - .offset:         168
        .size:           2
        .value_kind:     hidden_group_size_z
      - .offset:         170
        .size:           2
        .value_kind:     hidden_remainder_x
      - .offset:         172
        .size:           2
        .value_kind:     hidden_remainder_y
      - .offset:         174
        .size:           2
        .value_kind:     hidden_remainder_z
      - .offset:         192
        .size:           8
        .value_kind:     hidden_global_offset_x
      - .offset:         200
        .size:           8
        .value_kind:     hidden_global_offset_y
      - .offset:         208
        .size:           8
        .value_kind:     hidden_global_offset_z
      - .offset:         216
        .size:           2
        .value_kind:     hidden_grid_dims
    .group_segment_fixed_size: 16384
    .kernarg_segment_align: 8
    .kernarg_segment_size: 408
    .language:       OpenCL C
    .language_version:
      - 2
      - 0
    .max_flat_workgroup_size: 1024
    .name:           _ZL20rocblas_hbmvn_kernelILi64ELi16E19rocblas_complex_numIdEPKPKS1_PKPS1_EvbiiT1_T2_lllSA_lllS9_T3_llli
    .private_segment_fixed_size: 0
    .sgpr_count:     64
    .sgpr_spill_count: 0
    .symbol:         _ZL20rocblas_hbmvn_kernelILi64ELi16E19rocblas_complex_numIdEPKPKS1_PKPS1_EvbiiT1_T2_lllSA_lllS9_T3_llli.kd
    .uniform_work_group_size: 1
    .uses_dynamic_stack: false
    .vgpr_count:     32
    .vgpr_spill_count: 0
    .wavefront_size: 64
amdhsa.target:   amdgcn-amd-amdhsa--gfx950
amdhsa.version:
  - 1
  - 2
...

	.end_amdgpu_metadata
